;; amdgpu-corpus repo=ROCm/rocFFT kind=compiled arch=gfx950 opt=O3
	.text
	.amdgcn_target "amdgcn-amd-amdhsa--gfx950"
	.amdhsa_code_object_version 6
	.protected	fft_rtc_fwd_len1836_factors_17_3_3_2_6_wgs_153_tpt_153_halfLds_sp_op_CI_CI_unitstride_sbrr_R2C_dirReg ; -- Begin function fft_rtc_fwd_len1836_factors_17_3_3_2_6_wgs_153_tpt_153_halfLds_sp_op_CI_CI_unitstride_sbrr_R2C_dirReg
	.globl	fft_rtc_fwd_len1836_factors_17_3_3_2_6_wgs_153_tpt_153_halfLds_sp_op_CI_CI_unitstride_sbrr_R2C_dirReg
	.p2align	8
	.type	fft_rtc_fwd_len1836_factors_17_3_3_2_6_wgs_153_tpt_153_halfLds_sp_op_CI_CI_unitstride_sbrr_R2C_dirReg,@function
fft_rtc_fwd_len1836_factors_17_3_3_2_6_wgs_153_tpt_153_halfLds_sp_op_CI_CI_unitstride_sbrr_R2C_dirReg: ; @fft_rtc_fwd_len1836_factors_17_3_3_2_6_wgs_153_tpt_153_halfLds_sp_op_CI_CI_unitstride_sbrr_R2C_dirReg
; %bb.0:
	s_load_dwordx4 s[4:7], s[0:1], 0x58
	s_load_dwordx4 s[8:11], s[0:1], 0x0
	;; [unrolled: 1-line block ×3, first 2 shown]
	v_mul_u32_u24_e32 v1, 0x1ad, v0
	v_add_u32_sdwa v6, s2, v1 dst_sel:DWORD dst_unused:UNUSED_PAD src0_sel:DWORD src1_sel:WORD_1
	v_mov_b32_e32 v4, 0
	s_waitcnt lgkmcnt(0)
	v_cmp_lt_u64_e64 s[2:3], s[10:11], 2
	v_mov_b32_e32 v7, v4
	s_and_b64 vcc, exec, s[2:3]
	v_mov_b64_e32 v[2:3], 0
	s_cbranch_vccnz .LBB0_8
; %bb.1:
	s_load_dwordx2 s[2:3], s[0:1], 0x10
	s_add_u32 s16, s14, 8
	s_addc_u32 s17, s15, 0
	s_add_u32 s18, s12, 8
	s_addc_u32 s19, s13, 0
	s_waitcnt lgkmcnt(0)
	s_add_u32 s20, s2, 8
	v_mov_b64_e32 v[2:3], 0
	s_addc_u32 s21, s3, 0
	s_mov_b64 s[22:23], 1
	v_mov_b64_e32 v[32:33], v[2:3]
.LBB0_2:                                ; =>This Inner Loop Header: Depth=1
	s_load_dwordx2 s[24:25], s[20:21], 0x0
                                        ; implicit-def: $vgpr34_vgpr35
	s_waitcnt lgkmcnt(0)
	v_or_b32_e32 v5, s25, v7
	v_cmp_ne_u64_e32 vcc, 0, v[4:5]
	s_and_saveexec_b64 s[2:3], vcc
	s_xor_b64 s[26:27], exec, s[2:3]
	s_cbranch_execz .LBB0_4
; %bb.3:                                ;   in Loop: Header=BB0_2 Depth=1
	v_cvt_f32_u32_e32 v1, s24
	v_cvt_f32_u32_e32 v5, s25
	s_sub_u32 s2, 0, s24
	s_subb_u32 s3, 0, s25
	v_fmac_f32_e32 v1, 0x4f800000, v5
	v_rcp_f32_e32 v1, v1
	s_nop 0
	v_mul_f32_e32 v1, 0x5f7ffffc, v1
	v_mul_f32_e32 v5, 0x2f800000, v1
	v_trunc_f32_e32 v5, v5
	v_fmac_f32_e32 v1, 0xcf800000, v5
	v_cvt_u32_f32_e32 v5, v5
	v_cvt_u32_f32_e32 v1, v1
	v_mul_lo_u32 v8, s2, v5
	v_mul_hi_u32 v10, s2, v1
	v_mul_lo_u32 v9, s3, v1
	v_add_u32_e32 v10, v10, v8
	v_mul_lo_u32 v12, s2, v1
	v_add_u32_e32 v13, v10, v9
	v_mul_hi_u32 v8, v1, v12
	v_mul_hi_u32 v11, v1, v13
	v_mul_lo_u32 v10, v1, v13
	v_mov_b32_e32 v9, v4
	v_lshl_add_u64 v[8:9], v[8:9], 0, v[10:11]
	v_mul_hi_u32 v11, v5, v12
	v_mul_lo_u32 v12, v5, v12
	v_add_co_u32_e32 v8, vcc, v8, v12
	v_mul_hi_u32 v10, v5, v13
	s_nop 0
	v_addc_co_u32_e32 v8, vcc, v9, v11, vcc
	v_mov_b32_e32 v9, v4
	s_nop 0
	v_addc_co_u32_e32 v11, vcc, 0, v10, vcc
	v_mul_lo_u32 v10, v5, v13
	v_lshl_add_u64 v[8:9], v[8:9], 0, v[10:11]
	v_add_co_u32_e32 v1, vcc, v1, v8
	v_mul_lo_u32 v10, s2, v1
	s_nop 0
	v_addc_co_u32_e32 v5, vcc, v5, v9, vcc
	v_mul_lo_u32 v8, s2, v5
	v_mul_hi_u32 v9, s2, v1
	v_add_u32_e32 v8, v9, v8
	v_mul_lo_u32 v9, s3, v1
	v_add_u32_e32 v12, v8, v9
	v_mul_hi_u32 v14, v5, v10
	v_mul_lo_u32 v15, v5, v10
	v_mul_hi_u32 v9, v1, v12
	v_mul_lo_u32 v8, v1, v12
	v_mul_hi_u32 v10, v1, v10
	v_mov_b32_e32 v11, v4
	v_lshl_add_u64 v[8:9], v[10:11], 0, v[8:9]
	v_add_co_u32_e32 v8, vcc, v8, v15
	v_mul_hi_u32 v13, v5, v12
	s_nop 0
	v_addc_co_u32_e32 v8, vcc, v9, v14, vcc
	v_mul_lo_u32 v10, v5, v12
	s_nop 0
	v_addc_co_u32_e32 v11, vcc, 0, v13, vcc
	v_mov_b32_e32 v9, v4
	v_lshl_add_u64 v[8:9], v[8:9], 0, v[10:11]
	v_add_co_u32_e32 v1, vcc, v1, v8
	v_mul_hi_u32 v10, v6, v1
	s_nop 0
	v_addc_co_u32_e32 v5, vcc, v5, v9, vcc
	v_mad_u64_u32 v[8:9], s[2:3], v6, v5, 0
	v_mov_b32_e32 v11, v4
	v_lshl_add_u64 v[8:9], v[10:11], 0, v[8:9]
	v_mad_u64_u32 v[12:13], s[2:3], v7, v1, 0
	v_add_co_u32_e32 v1, vcc, v8, v12
	v_mad_u64_u32 v[10:11], s[2:3], v7, v5, 0
	s_nop 0
	v_addc_co_u32_e32 v8, vcc, v9, v13, vcc
	v_mov_b32_e32 v9, v4
	s_nop 0
	v_addc_co_u32_e32 v11, vcc, 0, v11, vcc
	v_lshl_add_u64 v[8:9], v[8:9], 0, v[10:11]
	v_mul_lo_u32 v1, s25, v8
	v_mul_lo_u32 v5, s24, v9
	v_mad_u64_u32 v[10:11], s[2:3], s24, v8, 0
	v_add3_u32 v1, v11, v5, v1
	v_sub_u32_e32 v5, v7, v1
	v_mov_b32_e32 v11, s25
	v_sub_co_u32_e32 v14, vcc, v6, v10
	v_lshl_add_u64 v[12:13], v[8:9], 0, 1
	s_nop 0
	v_subb_co_u32_e64 v5, s[2:3], v5, v11, vcc
	v_subrev_co_u32_e64 v10, s[2:3], s24, v14
	v_subb_co_u32_e32 v1, vcc, v7, v1, vcc
	s_nop 0
	v_subbrev_co_u32_e64 v5, s[2:3], 0, v5, s[2:3]
	v_cmp_le_u32_e64 s[2:3], s25, v5
	v_cmp_le_u32_e32 vcc, s25, v1
	s_nop 0
	v_cndmask_b32_e64 v11, 0, -1, s[2:3]
	v_cmp_le_u32_e64 s[2:3], s24, v10
	s_nop 1
	v_cndmask_b32_e64 v10, 0, -1, s[2:3]
	v_cmp_eq_u32_e64 s[2:3], s25, v5
	s_nop 1
	v_cndmask_b32_e64 v5, v11, v10, s[2:3]
	v_lshl_add_u64 v[10:11], v[8:9], 0, 2
	v_cmp_ne_u32_e64 s[2:3], 0, v5
	s_nop 1
	v_cndmask_b32_e64 v5, v13, v11, s[2:3]
	v_cndmask_b32_e64 v11, 0, -1, vcc
	v_cmp_le_u32_e32 vcc, s24, v14
	s_nop 1
	v_cndmask_b32_e64 v13, 0, -1, vcc
	v_cmp_eq_u32_e32 vcc, s25, v1
	s_nop 1
	v_cndmask_b32_e32 v1, v11, v13, vcc
	v_cmp_ne_u32_e32 vcc, 0, v1
	v_cndmask_b32_e64 v1, v12, v10, s[2:3]
	s_nop 0
	v_cndmask_b32_e32 v35, v9, v5, vcc
	v_cndmask_b32_e32 v34, v8, v1, vcc
.LBB0_4:                                ;   in Loop: Header=BB0_2 Depth=1
	s_andn2_saveexec_b64 s[2:3], s[26:27]
	s_cbranch_execz .LBB0_6
; %bb.5:                                ;   in Loop: Header=BB0_2 Depth=1
	v_cvt_f32_u32_e32 v1, s24
	s_sub_i32 s26, 0, s24
	v_mov_b32_e32 v35, v4
	v_rcp_iflag_f32_e32 v1, v1
	s_nop 0
	v_mul_f32_e32 v1, 0x4f7ffffe, v1
	v_cvt_u32_f32_e32 v1, v1
	v_mul_lo_u32 v5, s26, v1
	v_mul_hi_u32 v5, v1, v5
	v_add_u32_e32 v1, v1, v5
	v_mul_hi_u32 v1, v6, v1
	v_mul_lo_u32 v5, v1, s24
	v_sub_u32_e32 v5, v6, v5
	v_add_u32_e32 v8, 1, v1
	v_subrev_u32_e32 v9, s24, v5
	v_cmp_le_u32_e32 vcc, s24, v5
	s_nop 1
	v_cndmask_b32_e32 v5, v5, v9, vcc
	v_cndmask_b32_e32 v1, v1, v8, vcc
	v_add_u32_e32 v8, 1, v1
	v_cmp_le_u32_e32 vcc, s24, v5
	s_nop 1
	v_cndmask_b32_e32 v34, v1, v8, vcc
.LBB0_6:                                ;   in Loop: Header=BB0_2 Depth=1
	s_or_b64 exec, exec, s[2:3]
	v_mad_u64_u32 v[8:9], s[2:3], v34, s24, 0
	s_load_dwordx2 s[2:3], s[18:19], 0x0
	v_mul_lo_u32 v1, v35, s24
	v_mul_lo_u32 v5, v34, s25
	s_load_dwordx2 s[24:25], s[16:17], 0x0
	s_add_u32 s22, s22, 1
	v_add3_u32 v1, v9, v5, v1
	v_sub_co_u32_e32 v5, vcc, v6, v8
	s_addc_u32 s23, s23, 0
	s_nop 0
	v_subb_co_u32_e32 v1, vcc, v7, v1, vcc
	s_add_u32 s16, s16, 8
	s_waitcnt lgkmcnt(0)
	v_mul_lo_u32 v6, s2, v1
	v_mul_lo_u32 v7, s3, v5
	v_mad_u64_u32 v[2:3], s[2:3], s2, v5, v[2:3]
	s_addc_u32 s17, s17, 0
	v_add3_u32 v3, v7, v3, v6
	v_mul_lo_u32 v1, s24, v1
	v_mul_lo_u32 v6, s25, v5
	v_mad_u64_u32 v[32:33], s[2:3], s24, v5, v[32:33]
	s_add_u32 s18, s18, 8
	v_add3_u32 v33, v6, v33, v1
	s_addc_u32 s19, s19, 0
	v_mov_b64_e32 v[6:7], s[10:11]
	s_add_u32 s20, s20, 8
	v_cmp_ge_u64_e32 vcc, s[22:23], v[6:7]
	s_addc_u32 s21, s21, 0
	s_cbranch_vccnz .LBB0_9
; %bb.7:                                ;   in Loop: Header=BB0_2 Depth=1
	v_mov_b64_e32 v[6:7], v[34:35]
	s_branch .LBB0_2
.LBB0_8:
	v_mov_b64_e32 v[32:33], v[2:3]
	v_mov_b64_e32 v[34:35], v[6:7]
.LBB0_9:
	s_load_dwordx2 s[18:19], s[0:1], 0x28
	s_lshl_b64 s[16:17], s[10:11], 3
	s_add_u32 s2, s14, s16
	s_addc_u32 s3, s15, s17
                                        ; implicit-def: $vgpr36
	s_waitcnt lgkmcnt(0)
	v_cmp_gt_u64_e64 s[0:1], s[18:19], v[34:35]
	v_cmp_le_u64_e32 vcc, s[18:19], v[34:35]
	s_and_saveexec_b64 s[10:11], vcc
	s_xor_b64 s[10:11], exec, s[10:11]
; %bb.10:
	s_mov_b32 s14, 0x1ac5702
	v_mul_hi_u32 v1, v0, s14
	v_mul_u32_u24_e32 v1, 0x99, v1
	v_sub_u32_e32 v36, v0, v1
                                        ; implicit-def: $vgpr0
                                        ; implicit-def: $vgpr2_vgpr3
; %bb.11:
	s_andn2_saveexec_b64 s[10:11], s[10:11]
	s_cbranch_execz .LBB0_13
; %bb.12:
	s_add_u32 s12, s12, s16
	s_addc_u32 s13, s13, s17
	s_load_dwordx2 s[12:13], s[12:13], 0x0
	s_mov_b32 s14, 0x1ac5702
	s_waitcnt lgkmcnt(0)
	v_mul_lo_u32 v1, s13, v34
	v_mul_lo_u32 v6, s12, v35
	v_mad_u64_u32 v[4:5], s[12:13], s12, v34, 0
	v_add3_u32 v5, v5, v6, v1
	v_mul_hi_u32 v1, v0, s14
	v_mul_u32_u24_e32 v1, 0x99, v1
	v_sub_u32_e32 v36, v0, v1
	v_lshl_add_u64 v[0:1], v[4:5], 3, s[4:5]
	v_lshl_add_u64 v[0:1], v[2:3], 3, v[0:1]
	v_lshlrev_b32_e32 v2, 3, v36
	v_mov_b32_e32 v3, 0
	v_lshl_add_u64 v[0:1], v[0:1], 0, v[2:3]
	s_movk_i32 s4, 0x1000
	v_add_co_u32_e32 v12, vcc, s4, v0
	s_movk_i32 s4, 0x2000
	s_nop 0
	v_addc_co_u32_e32 v13, vcc, 0, v1, vcc
	v_add_co_u32_e32 v14, vcc, s4, v0
	global_load_dwordx2 v[4:5], v[0:1], off
	global_load_dwordx2 v[6:7], v[0:1], off offset:1224
	global_load_dwordx2 v[8:9], v[0:1], off offset:2448
	;; [unrolled: 1-line block ×3, first 2 shown]
	v_addc_co_u32_e32 v15, vcc, 0, v1, vcc
	global_load_dwordx2 v[16:17], v[12:13], off offset:800
	global_load_dwordx2 v[18:19], v[12:13], off offset:2024
	;; [unrolled: 1-line block ×4, first 2 shown]
	v_add_co_u32_e32 v0, vcc, 0x3000, v0
	s_nop 1
	v_addc_co_u32_e32 v1, vcc, 0, v1, vcc
	global_load_dwordx2 v[12:13], v[14:15], off offset:1600
	global_load_dwordx2 v[24:25], v[14:15], off offset:2824
	global_load_dwordx2 v[26:27], v[14:15], off offset:4048
	global_load_dwordx2 v[28:29], v[0:1], off offset:1176
	v_add_u32_e32 v0, 0, v2
	v_add_u32_e32 v1, 0x800, v0
	;; [unrolled: 1-line block ×5, first 2 shown]
	s_waitcnt vmcnt(10)
	ds_write2_b64 v0, v[4:5], v[6:7] offset1:153
	s_waitcnt vmcnt(8)
	ds_write2_b64 v1, v[8:9], v[10:11] offset0:50 offset1:203
	s_waitcnt vmcnt(6)
	ds_write2_b64 v2, v[16:17], v[18:19] offset0:100 offset1:253
	;; [unrolled: 2-line block ×4, first 2 shown]
	v_add_u32_e32 v0, 0x2e00, v0
	s_waitcnt vmcnt(0)
	ds_write2_b64 v0, v[26:27], v[28:29] offset0:58 offset1:211
.LBB0_13:
	s_or_b64 exec, exec, s[10:11]
	v_lshl_add_u32 v69, v36, 3, 0
	v_add_u32_e32 v0, 0x400, v69
	s_waitcnt lgkmcnt(0)
	s_barrier
	ds_read2_b64 v[28:31], v0 offset0:88 offset1:196
	v_add_u32_e32 v0, 0x1800, v69
	v_add_u32_e32 v71, 0xc00, v69
	;; [unrolled: 1-line block ×3, first 2 shown]
	ds_read2_b64 v[4:7], v0 offset0:96 offset1:204
	v_add_u32_e32 v72, 0x2000, v69
	v_add_u32_e32 v73, 0x2800, v69
	;; [unrolled: 1-line block ×3, first 2 shown]
	ds_read2_b64 v[38:41], v69 offset1:108
	ds_read2_b64 v[24:27], v71 offset0:48 offset1:156
	ds_read2_b64 v[20:23], v70 offset0:136 offset1:244
	;; [unrolled: 1-line block ×5, first 2 shown]
	ds_read_b64 v[48:49], v69 offset:13824
	s_movk_i32 s4, 0x6c
	s_movk_i32 s33, 0x2000
	v_cmp_gt_u32_e32 vcc, s4, v36
	s_waitcnt lgkmcnt(0)
	s_barrier
	s_and_saveexec_b64 s[4:5], vcc
	s_cbranch_execz .LBB0_15
; %bb.14:
	v_mov_b64_e32 v[0:1], v[38:39]
	v_mov_b64_e32 v[2:3], v[40:41]
	v_pk_add_f32 v[2:3], v[0:1], v[2:3]
	v_pk_add_f32 v[50:51], v[40:41], v[48:49] neg_lo:[0,1] neg_hi:[0,1]
	v_pk_add_f32 v[2:3], v[2:3], v[28:29]
	v_pk_add_f32 v[46:47], v[48:49], v[40:41]
	;; [unrolled: 1-line block ×3, first 2 shown]
	v_pk_add_f32 v[56:57], v[24:25], v[14:15] neg_lo:[0,1] neg_hi:[0,1]
	v_pk_add_f32 v[2:3], v[2:3], v[24:25]
	v_pk_add_f32 v[40:41], v[14:15], v[24:25]
	;; [unrolled: 1-line block ×3, first 2 shown]
	v_pk_add_f32 v[52:53], v[28:29], v[18:19] neg_lo:[0,1] neg_hi:[0,1]
	v_pk_add_f32 v[44:45], v[18:19], v[28:29]
	v_pk_add_f32 v[54:55], v[30:31], v[16:17] neg_lo:[0,1] neg_hi:[0,1]
	v_pk_add_f32 v[42:43], v[16:17], v[30:31]
	;; [unrolled: 2-line block ×3, first 2 shown]
	v_pk_add_f32 v[20:21], v[24:25], v[20:21]
	v_pk_add_f32 v[60:61], v[22:23], v[8:9] neg_lo:[0,1] neg_hi:[0,1]
	v_pk_add_f32 v[132:133], v[8:9], v[22:23]
	v_pk_add_f32 v[22:23], v[20:21], v[22:23]
	s_mov_b32 s40, 0x3f6eb680
	v_pk_add_f32 v[66:67], v[4:5], v[6:7] neg_lo:[0,1] neg_hi:[0,1]
	v_pk_add_f32 v[20:21], v[6:7], v[4:5]
	v_pk_add_f32 v[4:5], v[22:23], v[4:5]
	v_mov_b32_e32 v104, v46
	v_mov_b32_e32 v105, v50
	s_mov_b32 s41, 0xbeb8f4ab
	v_mov_b64_e32 v[62:63], v[0:1]
	v_pk_add_f32 v[4:5], v[4:5], v[6:7]
	v_pk_mul_f32 v[0:1], v[104:105], s[40:41]
	s_mov_b32 s46, 0x3f3d2fb0
	v_pk_add_f32 v[4:5], v[4:5], v[8:9]
	v_mov_b32_e32 v46, v51
	s_mov_b32 s10, s41
	s_mov_b32 s11, s40
	v_accvgpr_write_b32 a5, v1
	v_mov_b32_e32 v122, v44
	v_mov_b32_e32 v123, v52
	s_mov_b32 s47, 0xbf2c7751
	v_pk_add_f32 v[4:5], v[4:5], v[10:11]
	v_pk_fma_f32 v[8:9], v[46:47], s[10:11], v[0:1] neg_lo:[1,0,0] neg_hi:[1,0,0]
	v_pk_fma_f32 v[2:3], v[46:47], s[10:11], v[0:1]
	v_accvgpr_write_b32 a4, v0
	v_pk_mul_f32 v[0:1], v[122:123], s[46:47]
	s_mov_b32 s58, 0x3ee437d1
	v_pk_add_f32 v[4:5], v[4:5], v[12:13]
	v_mov_b32_e32 v44, v53
	s_mov_b32 s12, s47
	s_mov_b32 s13, s46
	v_accvgpr_write_b32 a9, v1
	v_mov_b32_e32 v124, v42
	v_mov_b32_e32 v125, v54
	s_mov_b32 s59, 0xbf65296c
	v_pk_add_f32 v[4:5], v[4:5], v[14:15]
	v_mov_b32_e32 v9, v3
	v_accvgpr_write_b32 a2, v2
	v_pk_fma_f32 v[14:15], v[44:45], s[12:13], v[0:1] neg_lo:[1,0,0] neg_hi:[1,0,0]
	v_pk_fma_f32 v[2:3], v[44:45], s[12:13], v[0:1]
	v_accvgpr_write_b32 a8, v0
	v_pk_mul_f32 v[0:1], v[124:125], s[58:59]
	s_mov_b32 s48, 0x3dbcf732
	v_pk_add_f32 v[4:5], v[4:5], v[16:17]
	v_mov_b32_e32 v42, v55
	s_mov_b32 s14, s59
	s_mov_b32 s15, s58
	v_accvgpr_write_b32 a13, v1
	v_mov_b32_e32 v128, v40
	v_mov_b32_e32 v129, v56
	s_mov_b32 s49, 0xbf7ee86f
	v_pk_add_f32 v[4:5], v[4:5], v[18:19]
	v_mov_b32_e32 v15, v3
	v_accvgpr_write_b32 a6, v2
	v_pk_fma_f32 v[18:19], v[42:43], s[14:15], v[0:1] neg_lo:[1,0,0] neg_hi:[1,0,0]
	v_pk_fma_f32 v[2:3], v[42:43], s[14:15], v[0:1]
	v_accvgpr_write_b32 a12, v0
	v_pk_mul_f32 v[0:1], v[128:129], s[48:49]
	v_mov_b32_e32 v40, v57
	s_mov_b32 s16, s49
	s_mov_b32 s17, s48
	v_pk_add_f32 v[58:59], v[26:27], v[12:13] neg_lo:[0,1] neg_hi:[0,1]
	v_pk_add_f32 v[38:39], v[12:13], v[26:27]
	v_mov_b32_e32 v19, v3
	v_accvgpr_write_b32 a10, v2
	v_pk_fma_f32 v[24:25], v[40:41], s[16:17], v[0:1] neg_lo:[1,0,0] neg_hi:[1,0,0]
	v_pk_fma_f32 v[2:3], v[40:41], s[16:17], v[0:1]
	s_mov_b32 s42, 0xbe8c1d8e
	v_accvgpr_write_b32 a17, v1
	v_mov_b32_e32 v25, v3
	v_accvgpr_write_b32 a14, v2
	v_mov_b32_e32 v2, v38
	v_mov_b32_e32 v3, v58
	s_mov_b32 s43, 0xbf763a35
	v_pk_add_f32 v[12:13], v[62:63], v[8:9]
	v_accvgpr_write_b32 a16, v0
	v_pk_mul_f32 v[0:1], v[2:3], s[42:43]
	s_mov_b32 s44, 0xbf1a4643
	v_pk_add_f32 v[16:17], v[14:15], v[12:13]
	v_mov_b32_e32 v38, v59
	s_mov_b32 s18, s43
	s_mov_b32 s19, s42
	v_accvgpr_write_b32 a19, v1
	v_mov_b32_e32 v130, v28
	v_mov_b32_e32 v131, v30
	s_mov_b32 s45, 0xbf4c4adb
	v_pk_add_f32 v[64:65], v[4:5], v[48:49]
	v_pk_add_f32 v[22:23], v[18:19], v[16:17]
	v_pk_fma_f32 v[48:49], v[38:39], s[18:19], v[0:1] neg_lo:[1,0,0] neg_hi:[1,0,0]
	v_pk_fma_f32 v[4:5], v[38:39], s[18:19], v[0:1]
	v_accvgpr_write_b32 a18, v0
	v_pk_mul_f32 v[0:1], v[130:131], s[44:45]
	v_pk_add_f32 v[26:27], v[24:25], v[22:23]
	v_mov_b32_e32 v49, v5
	v_mov_b32_e32 v28, v31
	s_mov_b32 s20, s45
	s_mov_b32 s21, s44
	v_accvgpr_write_b32 a21, v1
	s_mov_b32 s50, 0xbf59a7d5
	v_pk_add_f32 v[48:49], v[48:49], v[26:27]
	v_pk_fma_f32 v[50:51], v[28:29], s[20:21], v[0:1] neg_lo:[1,0,0] neg_hi:[1,0,0]
	v_pk_fma_f32 v[26:27], v[28:29], s[20:21], v[0:1]
	v_accvgpr_write_b32 a20, v0
	v_mov_b32_e32 v0, v132
	v_mov_b32_e32 v1, v60
	s_mov_b32 s51, 0xbf06c442
	v_accvgpr_write_b32 a28, v4
	v_mov_b32_e32 v51, v27
	v_mov_b32_e32 v132, v61
	s_mov_b32 s22, s51
	s_mov_b32 s23, s50
	v_pk_mul_f32 v[4:5], v[0:1], s[50:51]
	s_mov_b32 s54, 0xbf7ba420
	v_pk_add_f32 v[52:53], v[50:51], v[48:49]
	v_pk_fma_f32 v[54:55], v[132:133], s[22:23], v[4:5] neg_lo:[1,0,0] neg_hi:[1,0,0]
	v_pk_fma_f32 v[48:49], v[132:133], s[22:23], v[4:5]
	v_accvgpr_write_b32 a23, v5
	v_mov_b32_e32 v134, v20
	v_mov_b32_e32 v135, v66
	s_mov_b32 s55, 0xbe3c28d5
	v_accvgpr_write_b32 a22, v4
	v_mov_b32_e32 v55, v49
	v_mov_b32_e32 v20, v67
	s_mov_b32 s24, s55
	s_mov_b32 s25, s54
	v_pk_mul_f32 v[4:5], v[134:135], s[54:55]
	v_pk_add_f32 v[56:57], v[54:55], v[52:53]
	v_pk_fma_f32 v[58:59], v[20:21], s[24:25], v[4:5] neg_lo:[1,0,0] neg_hi:[1,0,0]
	v_pk_fma_f32 v[52:53], v[20:21], s[24:25], v[4:5]
	v_accvgpr_write_b32 a25, v5
	v_mov_b32_e32 v59, v53
	v_accvgpr_write_b32 a24, v4
	v_pk_add_f32 v[56:57], v[58:59], v[56:57]
	v_lshl_add_u32 v37, v36, 7, v69
	v_pk_mul_f32 v[4:5], v[104:105], s[46:47]
	ds_write2_b64 v37, v[64:65], v[56:57] offset1:1
	v_pk_fma_f32 v[60:61], v[46:47], s[12:13], v[4:5] neg_lo:[1,0,0] neg_hi:[1,0,0]
	v_pk_fma_f32 v[56:57], v[46:47], s[12:13], v[4:5]
	v_pk_mul_f32 v[58:59], v[122:123], s[48:49]
	v_mov_b32_e32 v61, v57
	v_pk_add_f32 v[64:65], v[62:63], v[60:61]
	v_pk_fma_f32 v[66:67], v[44:45], s[16:17], v[58:59] neg_lo:[1,0,0] neg_hi:[1,0,0]
	v_pk_fma_f32 v[60:61], v[44:45], s[16:17], v[58:59]
	v_accvgpr_write_b32 a1, v69
	v_mov_b32_e32 v67, v61
	v_pk_add_f32 v[68:69], v[66:67], v[64:65]
	v_pk_mul_f32 v[66:67], v[124:125], s[44:45]
	v_mov_b32_e32 v27, v70
	v_mov_b32_e32 v49, v71
	v_pk_fma_f32 v[70:71], v[42:43], s[20:21], v[66:67] neg_lo:[1,0,0] neg_hi:[1,0,0]
	v_pk_fma_f32 v[64:65], v[42:43], s[20:21], v[66:67]
	v_mov_b32_e32 v53, v72
	v_mov_b32_e32 v71, v65
	v_accvgpr_write_b32 a0, v73
	v_pk_add_f32 v[72:73], v[70:71], v[68:69]
	v_pk_mul_f32 v[70:71], v[128:129], s[54:55]
	s_mov_b32 s67, 0x3f06c442
	v_pk_fma_f32 v[74:75], v[40:41], s[24:25], v[70:71] neg_lo:[1,0,0] neg_hi:[1,0,0]
	v_pk_fma_f32 v[68:69], v[40:41], s[24:25], v[70:71]
	s_mov_b32 s66, s50
	v_mov_b32_e32 v75, v69
	v_pk_add_f32 v[76:77], v[74:75], v[72:73]
	s_mov_b32 s26, s67
	s_mov_b32 s27, s50
	v_pk_mul_f32 v[74:75], v[2:3], s[66:67]
	s_mov_b32 s65, 0x3f763a35
	v_pk_fma_f32 v[78:79], v[38:39], s[26:27], v[74:75] neg_lo:[1,0,0] neg_hi:[1,0,0]
	v_pk_fma_f32 v[72:73], v[38:39], s[26:27], v[74:75]
	s_mov_b32 s64, s42
	v_mov_b32_e32 v79, v73
	v_pk_add_f32 v[80:81], v[78:79], v[76:77]
	s_mov_b32 s28, s65
	s_mov_b32 s29, s42
	;; [unrolled: 9-line block ×4, first 2 shown]
	v_pk_mul_f32 v[86:87], v[134:135], s[60:61]
	v_accvgpr_write_b32 a27, v5
	v_pk_fma_f32 v[90:91], v[20:21], s[34:35], v[86:87] neg_lo:[1,0,0] neg_hi:[1,0,0]
	v_pk_fma_f32 v[84:85], v[20:21], s[34:35], v[86:87]
	v_accvgpr_write_b32 a26, v4
	v_mov_b32_e32 v91, v85
	v_pk_add_f32 v[4:5], v[90:91], v[88:89]
	v_pk_mul_f32 v[90:91], v[104:105], s[58:59]
	v_pk_mul_f32 v[54:55], v[122:123], s[44:45]
	v_pk_fma_f32 v[92:93], v[46:47], s[14:15], v[90:91] neg_lo:[1,0,0] neg_hi:[1,0,0]
	v_pk_fma_f32 v[88:89], v[46:47], s[14:15], v[90:91]
	v_pk_fma_f32 v[98:99], v[44:45], s[20:21], v[54:55] neg_lo:[1,0,0] neg_hi:[1,0,0]
	v_mov_b32_e32 v93, v89
	v_pk_add_f32 v[96:97], v[62:63], v[92:93]
	v_pk_fma_f32 v[92:93], v[44:45], s[20:21], v[54:55]
	s_mov_b32 s39, 0x3e3c28d5
	v_mov_b32_e32 v99, v93
	s_mov_b32 s38, s54
	v_pk_add_f32 v[100:101], v[98:99], v[96:97]
	s_mov_b32 s36, s39
	s_mov_b32 s37, s54
	v_pk_mul_f32 v[98:99], v[124:125], s[38:39]
	s_mov_b32 s63, 0x3f2c7751
	v_pk_fma_f32 v[102:103], v[42:43], s[36:37], v[98:99] neg_lo:[1,0,0] neg_hi:[1,0,0]
	v_pk_fma_f32 v[96:97], v[42:43], s[36:37], v[98:99]
	s_mov_b32 s62, s46
	v_mov_b32_e32 v103, v97
	v_pk_add_f32 v[106:107], v[102:103], v[100:101]
	v_pk_mul_f32 v[102:103], v[128:129], s[64:65]
	s_mov_b32 s38, s63
	v_pk_fma_f32 v[108:109], v[40:41], s[28:29], v[102:103] neg_lo:[1,0,0] neg_hi:[1,0,0]
	v_pk_fma_f32 v[100:101], v[40:41], s[28:29], v[102:103]
	s_mov_b32 s39, s46
	v_mov_b32_e32 v109, v101
	v_pk_add_f32 v[110:111], v[108:109], v[106:107]
	v_pk_mul_f32 v[108:109], v[2:3], s[62:63]
	v_pk_mul_f32 v[50:51], v[122:123], s[54:55]
	v_pk_fma_f32 v[112:113], v[38:39], s[38:39], v[108:109] neg_lo:[1,0,0] neg_hi:[1,0,0]
	v_pk_fma_f32 v[106:107], v[38:39], s[38:39], v[108:109]
	v_pk_fma_f32 v[146:147], v[44:45], s[24:25], v[50:51] neg_lo:[1,0,0] neg_hi:[1,0,0]
	v_mov_b32_e32 v113, v107
	v_pk_add_f32 v[114:115], v[112:113], v[110:111]
	v_pk_mul_f32 v[112:113], v[130:131], s[40:41]
	s_mov_b32 s69, 0x3f4c4adb
	v_pk_fma_f32 v[116:117], v[28:29], s[10:11], v[112:113] neg_lo:[1,0,0] neg_hi:[1,0,0]
	v_pk_fma_f32 v[110:111], v[28:29], s[10:11], v[112:113]
	s_mov_b32 s68, s44
	v_mov_b32_e32 v117, v111
	v_pk_add_f32 v[118:119], v[116:117], v[114:115]
	v_pk_mul_f32 v[116:117], v[0:1], s[48:49]
	s_mov_b32 s52, s69
	v_pk_fma_f32 v[120:121], v[132:133], s[16:17], v[116:117] neg_lo:[1,0,0] neg_hi:[1,0,0]
	v_pk_fma_f32 v[114:115], v[132:133], s[16:17], v[116:117]
	s_mov_b32 s53, s44
	v_mov_b32_e32 v121, v115
	v_pk_add_f32 v[138:139], v[120:121], v[118:119]
	v_pk_mul_f32 v[120:121], v[134:135], s[50:51]
	v_pk_mul_f32 v[30:31], v[122:123], s[66:67]
	v_pk_fma_f32 v[140:141], v[20:21], s[22:23], v[120:121] neg_lo:[1,0,0] neg_hi:[1,0,0]
	v_pk_fma_f32 v[118:119], v[20:21], s[22:23], v[120:121]
	v_pk_fma_f32 v[178:179], v[44:45], s[26:27], v[30:31] neg_lo:[1,0,0] neg_hi:[1,0,0]
	v_mov_b32_e32 v141, v119
	v_pk_add_f32 v[138:139], v[140:141], v[138:139]
	ds_write2_b64 v37, v[4:5], v[138:139] offset0:2 offset1:3
	v_pk_mul_f32 v[138:139], v[104:105], s[48:49]
	s_mov_b32 s67, 0x3f7ee86f
	v_pk_fma_f32 v[140:141], v[46:47], s[16:17], v[138:139] neg_lo:[1,0,0] neg_hi:[1,0,0]
	v_pk_fma_f32 v[16:17], v[46:47], s[16:17], v[138:139]
	s_mov_b32 s66, s48
	v_mov_b32_e32 v141, v17
	v_pk_add_f32 v[144:145], v[62:63], v[140:141]
	v_pk_fma_f32 v[140:141], v[44:45], s[24:25], v[50:51]
	v_pk_mul_f32 v[24:25], v[104:105], s[44:45]
	v_mov_b32_e32 v147, v141
	v_pk_add_f32 v[148:149], v[146:147], v[144:145]
	v_pk_mul_f32 v[146:147], v[124:125], s[64:65]
	v_pk_mul_f32 v[22:23], v[122:123], s[64:65]
	v_pk_fma_f32 v[150:151], v[42:43], s[28:29], v[146:147] neg_lo:[1,0,0] neg_hi:[1,0,0]
	v_pk_fma_f32 v[144:145], v[42:43], s[28:29], v[146:147]
	v_pk_fma_f32 v[214:215], v[44:45], s[28:29], v[22:23] neg_lo:[1,0,0] neg_hi:[1,0,0]
	v_mov_b32_e32 v151, v145
	v_pk_add_f32 v[152:153], v[150:151], v[148:149]
	v_pk_mul_f32 v[150:151], v[128:129], s[60:61]
	v_pk_fma_f32 v[216:217], v[44:45], s[28:29], v[22:23]
	v_pk_fma_f32 v[154:155], v[40:41], s[34:35], v[150:151] neg_lo:[1,0,0] neg_hi:[1,0,0]
	v_pk_fma_f32 v[148:149], v[40:41], s[34:35], v[150:151]
	v_mov_b32_e32 v215, v217
	v_mov_b32_e32 v155, v149
	v_pk_add_f32 v[156:157], v[154:155], v[152:153]
	v_pk_mul_f32 v[154:155], v[2:3], s[58:59]
	v_pk_mul_f32 v[18:19], v[122:123], s[56:57]
	v_pk_fma_f32 v[158:159], v[38:39], s[14:15], v[154:155] neg_lo:[1,0,0] neg_hi:[1,0,0]
	v_pk_fma_f32 v[152:153], v[38:39], s[14:15], v[154:155]
	v_pk_fma_f32 v[248:249], v[44:45], s[30:31], v[18:19] neg_lo:[1,0,0] neg_hi:[1,0,0]
	v_mov_b32_e32 v159, v153
	v_pk_add_f32 v[160:161], v[158:159], v[156:157]
	v_pk_mul_f32 v[158:159], v[130:131], s[50:51]
	v_pk_fma_f32 v[250:251], v[44:45], s[30:31], v[18:19]
	v_pk_fma_f32 v[162:163], v[28:29], s[22:23], v[158:159] neg_lo:[1,0,0] neg_hi:[1,0,0]
	v_pk_fma_f32 v[156:157], v[28:29], s[22:23], v[158:159]
	v_mov_b32_e32 v249, v251
	v_mov_b32_e32 v163, v157
	v_pk_add_f32 v[164:165], v[162:163], v[160:161]
	v_pk_mul_f32 v[162:163], v[0:1], s[68:69]
	v_mov_b64_e32 v[14:15], v[62:63]
	v_pk_fma_f32 v[166:167], v[132:133], s[52:53], v[162:163] neg_lo:[1,0,0] neg_hi:[1,0,0]
	v_pk_fma_f32 v[160:161], v[132:133], s[52:53], v[162:163]
	v_pk_mul_f32 v[122:123], v[122:123], s[60:61]
	v_mov_b32_e32 v167, v161
	v_pk_add_f32 v[168:169], v[166:167], v[164:165]
	v_pk_mul_f32 v[166:167], v[134:135], s[62:63]
	v_pk_fma_f32 v[246:247], v[44:45], s[34:35], v[122:123]
	v_pk_fma_f32 v[170:171], v[20:21], s[38:39], v[166:167] neg_lo:[1,0,0] neg_hi:[1,0,0]
	v_pk_fma_f32 v[164:165], v[20:21], s[38:39], v[166:167]
	v_pk_mul_f32 v[12:13], v[2:3], s[44:45]
	v_mov_b32_e32 v171, v165
	v_pk_add_f32 v[4:5], v[170:171], v[168:169]
	v_pk_mul_f32 v[170:171], v[104:105], s[42:43]
	v_pk_fma_f32 v[6:7], v[38:39], s[20:21], v[12:13]
	v_pk_fma_f32 v[172:173], v[46:47], s[18:19], v[170:171] neg_lo:[1,0,0] neg_hi:[1,0,0]
	v_pk_fma_f32 v[168:169], v[46:47], s[18:19], v[170:171]
	v_pk_mul_f32 v[10:11], v[0:1], s[42:43]
	v_mov_b32_e32 v173, v169
	v_pk_add_f32 v[176:177], v[62:63], v[172:173]
	v_pk_fma_f32 v[172:173], v[44:45], s[26:27], v[30:31]
	s_nop 0
	v_mov_b32_e32 v179, v173
	v_pk_add_f32 v[180:181], v[178:179], v[176:177]
	v_pk_mul_f32 v[178:179], v[124:125], s[62:63]
	s_nop 0
	v_pk_fma_f32 v[182:183], v[42:43], s[38:39], v[178:179] neg_lo:[1,0,0] neg_hi:[1,0,0]
	v_pk_fma_f32 v[176:177], v[42:43], s[38:39], v[178:179]
	s_nop 0
	v_mov_b32_e32 v183, v177
	v_pk_add_f32 v[184:185], v[182:183], v[180:181]
	v_pk_mul_f32 v[182:183], v[128:129], s[58:59]
	s_mov_b32 s58, s67
	v_pk_fma_f32 v[186:187], v[40:41], s[14:15], v[182:183] neg_lo:[1,0,0] neg_hi:[1,0,0]
	v_pk_fma_f32 v[180:181], v[40:41], s[14:15], v[182:183]
	s_mov_b32 s59, s48
	v_mov_b32_e32 v187, v181
	v_pk_add_f32 v[188:189], v[186:187], v[184:185]
	v_pk_mul_f32 v[186:187], v[2:3], s[54:55]
	s_nop 0
	v_pk_fma_f32 v[190:191], v[38:39], s[24:25], v[186:187] neg_lo:[1,0,0] neg_hi:[1,0,0]
	v_pk_fma_f32 v[184:185], v[38:39], s[24:25], v[186:187]
	s_nop 0
	v_mov_b32_e32 v191, v185
	v_pk_add_f32 v[192:193], v[190:191], v[188:189]
	v_pk_mul_f32 v[190:191], v[130:131], s[66:67]
	s_nop 0
	v_pk_fma_f32 v[194:195], v[28:29], s[58:59], v[190:191] neg_lo:[1,0,0] neg_hi:[1,0,0]
	v_pk_fma_f32 v[188:189], v[28:29], s[58:59], v[190:191]
	s_nop 0
	;; [unrolled: 7-line block ×4, first 2 shown]
	v_mov_b32_e32 v211, v197
	v_pk_add_f32 v[208:209], v[210:211], v[208:209]
	ds_write2_b64 v37, v[4:5], v[208:209] offset0:4 offset1:5
	v_pk_fma_f32 v[208:209], v[46:47], s[20:21], v[24:25] neg_lo:[1,0,0] neg_hi:[1,0,0]
	v_pk_fma_f32 v[210:211], v[46:47], s[20:21], v[24:25]
	s_nop 0
	v_mov_b32_e32 v209, v211
	v_pk_add_f32 v[208:209], v[62:63], v[208:209]
	s_nop 0
	v_pk_add_f32 v[208:209], v[214:215], v[208:209]
	v_pk_mul_f32 v[214:215], v[124:125], s[40:41]
	s_nop 0
	v_pk_fma_f32 v[218:219], v[42:43], s[10:11], v[214:215] neg_lo:[1,0,0] neg_hi:[1,0,0]
	v_pk_fma_f32 v[220:221], v[42:43], s[10:11], v[214:215]
	s_nop 0
	v_mov_b32_e32 v219, v221
	v_pk_add_f32 v[208:209], v[218:219], v[208:209]
	v_pk_mul_f32 v[218:219], v[128:129], s[50:51]
	s_nop 0
	v_pk_fma_f32 v[222:223], v[40:41], s[22:23], v[218:219] neg_lo:[1,0,0] neg_hi:[1,0,0]
	v_pk_fma_f32 v[224:225], v[40:41], s[22:23], v[218:219]
	s_nop 0
	v_mov_b32_e32 v223, v225
	;; [unrolled: 7-line block ×6, first 2 shown]
	v_pk_add_f32 v[208:209], v[238:239], v[208:209]
	v_pk_mul_f32 v[238:239], v[104:105], s[50:51]
	v_pk_mul_f32 v[104:105], v[104:105], s[54:55]
	v_pk_fma_f32 v[242:243], v[46:47], s[22:23], v[238:239] neg_lo:[1,0,0] neg_hi:[1,0,0]
	v_pk_fma_f32 v[244:245], v[46:47], s[22:23], v[238:239]
	s_nop 0
	v_mov_b32_e32 v243, v245
	v_pk_add_f32 v[242:243], v[62:63], v[242:243]
	s_nop 0
	v_pk_add_f32 v[242:243], v[248:249], v[242:243]
	v_pk_mul_f32 v[248:249], v[124:125], s[48:49]
	v_pk_mul_f32 v[124:125], v[124:125], s[50:51]
	v_pk_fma_f32 v[252:253], v[42:43], s[16:17], v[248:249] neg_lo:[1,0,0] neg_hi:[1,0,0]
	v_pk_fma_f32 v[254:255], v[42:43], s[16:17], v[248:249]
	v_pk_fma_f32 v[8:9], v[42:43], s[22:23], v[124:125]
	v_mov_b32_e32 v253, v255
	v_pk_add_f32 v[242:243], v[252:253], v[242:243]
	v_pk_mul_f32 v[252:253], v[128:129], s[68:69]
	v_pk_mul_f32 v[128:129], v[128:129], s[62:63]
	v_pk_fma_f32 v[202:203], v[40:41], s[52:53], v[252:253] neg_lo:[1,0,0] neg_hi:[1,0,0]
	v_pk_fma_f32 v[204:205], v[40:41], s[52:53], v[252:253]
	v_pk_fma_f32 v[126:127], v[40:41], s[38:39], v[128:129]
	v_mov_b32_e32 v203, v205
	v_pk_add_f32 v[202:203], v[202:203], v[242:243]
	v_pk_mul_f32 v[242:243], v[2:3], s[40:41]
	v_pk_fma_f32 v[2:3], v[132:133], s[18:19], v[10:11]
	v_pk_fma_f32 v[200:201], v[38:39], s[10:11], v[242:243] neg_lo:[1,0,0] neg_hi:[1,0,0]
	v_pk_fma_f32 v[94:95], v[38:39], s[10:11], v[242:243]
	s_nop 0
	v_mov_b32_e32 v201, v95
	v_pk_add_f32 v[200:201], v[200:201], v[202:203]
	v_pk_mul_f32 v[202:203], v[130:131], s[54:55]
	v_pk_mul_f32 v[130:131], v[130:131], s[56:57]
	v_pk_fma_f32 v[142:143], v[28:29], s[24:25], v[202:203] neg_lo:[1,0,0] neg_hi:[1,0,0]
	v_pk_fma_f32 v[174:175], v[28:29], s[24:25], v[202:203]
	v_pk_fma_f32 v[4:5], v[28:29], s[30:31], v[130:131]
	v_mov_b32_e32 v143, v175
	v_pk_add_f32 v[142:143], v[142:143], v[200:201]
	v_pk_mul_f32 v[200:201], v[0:1], s[62:63]
	s_nop 0
	v_pk_fma_f32 v[212:213], v[132:133], s[38:39], v[200:201] neg_lo:[1,0,0] neg_hi:[1,0,0]
	v_pk_fma_f32 v[62:63], v[132:133], s[38:39], v[200:201]
	s_nop 0
	v_mov_b32_e32 v213, v63
	v_pk_add_f32 v[142:143], v[212:213], v[142:143]
	v_pk_mul_f32 v[212:213], v[134:135], s[42:43]
	v_pk_mul_f32 v[134:135], v[134:135], s[66:67]
	v_pk_fma_f32 v[136:137], v[20:21], s[18:19], v[212:213] neg_lo:[1,0,0] neg_hi:[1,0,0]
	v_pk_fma_f32 v[206:207], v[20:21], s[18:19], v[212:213]
	v_pk_fma_f32 v[0:1], v[20:21], s[58:59], v[134:135]
	v_mov_b32_e32 v137, v207
	v_pk_add_f32 v[136:137], v[136:137], v[142:143]
	ds_write2_b64 v37, v[208:209], v[136:137] offset0:6 offset1:7
	v_pk_fma_f32 v[136:137], v[46:47], s[24:25], v[104:105] neg_lo:[1,0,0] neg_hi:[1,0,0]
	v_pk_fma_f32 v[142:143], v[46:47], s[24:25], v[104:105]
	v_pk_fma_f32 v[208:209], v[44:45], s[34:35], v[122:123] neg_lo:[1,0,0] neg_hi:[1,0,0]
	v_mov_b32_e32 v137, v143
	v_pk_add_f32 v[136:137], v[14:15], v[136:137]
	v_mov_b32_e32 v209, v247
	v_pk_fma_f32 v[104:105], v[46:47], s[24:25], v[104:105] neg_lo:[0,0,1] neg_hi:[0,0,1]
	v_pk_add_f32 v[136:137], v[208:209], v[136:137]
	v_pk_fma_f32 v[208:209], v[42:43], s[22:23], v[124:125] neg_lo:[1,0,0] neg_hi:[1,0,0]
	v_mov_b32_e32 v143, v105
	v_pk_fma_f32 v[104:105], v[44:45], s[34:35], v[122:123] neg_lo:[0,0,1] neg_hi:[0,0,1]
	v_mov_b32_e32 v209, v9
	v_mov_b32_e32 v247, v105
	v_pk_add_f32 v[104:105], v[14:15], v[142:143]
	v_pk_fma_f32 v[122:123], v[42:43], s[22:23], v[124:125] neg_lo:[0,0,1] neg_hi:[0,0,1]
	v_pk_add_f32 v[136:137], v[208:209], v[136:137]
	v_pk_fma_f32 v[208:209], v[40:41], s[38:39], v[128:129] neg_lo:[1,0,0] neg_hi:[1,0,0]
	v_pk_add_f32 v[104:105], v[246:247], v[104:105]
	v_mov_b32_e32 v9, v123
	v_mov_b32_e32 v209, v127
	v_pk_add_f32 v[8:9], v[8:9], v[104:105]
	v_pk_fma_f32 v[104:105], v[40:41], s[38:39], v[128:129] neg_lo:[0,0,1] neg_hi:[0,0,1]
	v_pk_add_f32 v[136:137], v[208:209], v[136:137]
	v_pk_fma_f32 v[208:209], v[38:39], s[20:21], v[12:13] neg_lo:[1,0,0] neg_hi:[1,0,0]
	v_mov_b32_e32 v127, v105
	v_pk_fma_f32 v[12:13], v[38:39], s[20:21], v[12:13] neg_lo:[0,0,1] neg_hi:[0,0,1]
	v_mov_b32_e32 v209, v7
	v_pk_add_f32 v[8:9], v[126:127], v[8:9]
	v_mov_b32_e32 v7, v13
	v_pk_add_f32 v[136:137], v[208:209], v[136:137]
	v_pk_fma_f32 v[208:209], v[28:29], s[30:31], v[130:131] neg_lo:[1,0,0] neg_hi:[1,0,0]
	v_pk_add_f32 v[6:7], v[6:7], v[8:9]
	v_pk_fma_f32 v[8:9], v[28:29], s[30:31], v[130:131] neg_lo:[0,0,1] neg_hi:[0,0,1]
	v_mov_b32_e32 v209, v5
	v_mov_b32_e32 v5, v9
	v_pk_add_f32 v[136:137], v[208:209], v[136:137]
	v_pk_fma_f32 v[208:209], v[132:133], s[18:19], v[10:11] neg_lo:[1,0,0] neg_hi:[1,0,0]
	v_pk_add_f32 v[4:5], v[4:5], v[6:7]
	v_pk_fma_f32 v[6:7], v[132:133], s[18:19], v[10:11] neg_lo:[0,0,1] neg_hi:[0,0,1]
	v_mov_b32_e32 v209, v3
	;; [unrolled: 6-line block ×3, first 2 shown]
	v_mov_b32_e32 v1, v5
	v_pk_add_f32 v[0:1], v[0:1], v[2:3]
	v_pk_fma_f32 v[2:3], v[42:43], s[16:17], v[248:249] neg_lo:[0,0,1] neg_hi:[0,0,1]
	v_pk_add_f32 v[136:137], v[208:209], v[136:137]
	v_mov_b32_e32 v255, v3
	v_pk_fma_f32 v[2:3], v[40:41], s[52:53], v[252:253] neg_lo:[0,0,1] neg_hi:[0,0,1]
	ds_write2_b64 v37, v[136:137], v[0:1] offset0:8 offset1:9
	v_mov_b32_e32 v205, v3
	v_pk_fma_f32 v[2:3], v[38:39], s[10:11], v[242:243] neg_lo:[0,0,1] neg_hi:[0,0,1]
	v_pk_fma_f32 v[0:1], v[46:47], s[22:23], v[238:239] neg_lo:[0,0,1] neg_hi:[0,0,1]
	v_mov_b32_e32 v95, v3
	v_pk_fma_f32 v[2:3], v[28:29], s[24:25], v[202:203] neg_lo:[0,0,1] neg_hi:[0,0,1]
	v_mov_b32_e32 v245, v1
	v_mov_b32_e32 v175, v3
	v_pk_fma_f32 v[2:3], v[132:133], s[38:39], v[200:201] neg_lo:[0,0,1] neg_hi:[0,0,1]
	v_pk_fma_f32 v[0:1], v[44:45], s[30:31], v[18:19] neg_lo:[0,0,1] neg_hi:[0,0,1]
	v_mov_b32_e32 v63, v3
	v_pk_fma_f32 v[2:3], v[20:21], s[18:19], v[212:213] neg_lo:[0,0,1] neg_hi:[0,0,1]
	v_mov_b64_e32 v[4:5], v[14:15]
	v_mov_b32_e32 v207, v3
	v_pk_fma_f32 v[2:3], v[46:47], s[20:21], v[24:25] neg_lo:[0,0,1] neg_hi:[0,0,1]
	v_mov_b32_e32 v251, v1
	v_mov_b32_e32 v211, v3
	v_pk_fma_f32 v[2:3], v[44:45], s[28:29], v[22:23] neg_lo:[0,0,1] neg_hi:[0,0,1]
	v_pk_add_f32 v[0:1], v[4:5], v[244:245]
	v_mov_b32_e32 v217, v3
	v_pk_add_f32 v[2:3], v[4:5], v[210:211]
	v_pk_fma_f32 v[4:5], v[42:43], s[10:11], v[214:215] neg_lo:[0,0,1] neg_hi:[0,0,1]
	v_pk_add_f32 v[0:1], v[250:251], v[0:1]
	v_pk_add_f32 v[2:3], v[216:217], v[2:3]
	v_mov_b32_e32 v221, v5
	v_pk_fma_f32 v[4:5], v[40:41], s[22:23], v[218:219] neg_lo:[0,0,1] neg_hi:[0,0,1]
	v_pk_add_f32 v[0:1], v[254:255], v[0:1]
	v_pk_add_f32 v[2:3], v[220:221], v[2:3]
	v_mov_b32_e32 v225, v5
	;; [unrolled: 4-line block ×6, first 2 shown]
	v_pk_add_f32 v[0:1], v[206:207], v[0:1]
	v_pk_add_f32 v[2:3], v[240:241], v[2:3]
	ds_write2_b64 v37, v[0:1], v[2:3] offset0:10 offset1:11
	v_pk_fma_f32 v[2:3], v[42:43], s[38:39], v[178:179] neg_lo:[0,0,1] neg_hi:[0,0,1]
	v_pk_fma_f32 v[0:1], v[46:47], s[18:19], v[170:171] neg_lo:[0,0,1] neg_hi:[0,0,1]
	v_mov_b32_e32 v177, v3
	v_pk_fma_f32 v[2:3], v[40:41], s[14:15], v[182:183] neg_lo:[0,0,1] neg_hi:[0,0,1]
	v_mov_b64_e32 v[6:7], v[14:15]
	v_mov_b32_e32 v181, v3
	v_pk_fma_f32 v[2:3], v[38:39], s[24:25], v[186:187] neg_lo:[0,0,1] neg_hi:[0,0,1]
	v_mov_b32_e32 v169, v1
	v_mov_b32_e32 v185, v3
	v_pk_fma_f32 v[2:3], v[28:29], s[58:59], v[190:191] neg_lo:[0,0,1] neg_hi:[0,0,1]
	v_pk_fma_f32 v[0:1], v[44:45], s[26:27], v[30:31] neg_lo:[0,0,1] neg_hi:[0,0,1]
	v_mov_b32_e32 v189, v3
	v_pk_fma_f32 v[2:3], v[132:133], s[10:11], v[194:195] neg_lo:[0,0,1] neg_hi:[0,0,1]
	v_mov_b32_e32 v173, v1
	v_mov_b32_e32 v193, v3
	v_pk_fma_f32 v[2:3], v[20:21], s[20:21], v[198:199] neg_lo:[0,0,1] neg_hi:[0,0,1]
	v_pk_add_f32 v[0:1], v[6:7], v[168:169]
	v_mov_b32_e32 v197, v3
	v_pk_fma_f32 v[2:3], v[46:47], s[16:17], v[138:139] neg_lo:[0,0,1] neg_hi:[0,0,1]
	v_pk_fma_f32 v[4:5], v[42:43], s[28:29], v[146:147] neg_lo:[0,0,1] neg_hi:[0,0,1]
	v_mov_b32_e32 v17, v3
	v_pk_fma_f32 v[2:3], v[44:45], s[24:25], v[50:51] neg_lo:[0,0,1] neg_hi:[0,0,1]
	v_pk_add_f32 v[0:1], v[172:173], v[0:1]
	v_mov_b32_e32 v141, v3
	v_pk_add_f32 v[2:3], v[6:7], v[16:17]
	v_mov_b32_e32 v145, v5
	v_pk_add_f32 v[2:3], v[140:141], v[2:3]
	v_pk_fma_f32 v[4:5], v[40:41], s[34:35], v[150:151] neg_lo:[0,0,1] neg_hi:[0,0,1]
	v_pk_add_f32 v[0:1], v[176:177], v[0:1]
	v_pk_add_f32 v[2:3], v[144:145], v[2:3]
	v_mov_b32_e32 v149, v5
	v_pk_fma_f32 v[4:5], v[38:39], s[14:15], v[154:155] neg_lo:[0,0,1] neg_hi:[0,0,1]
	v_pk_add_f32 v[0:1], v[180:181], v[0:1]
	v_pk_add_f32 v[2:3], v[148:149], v[2:3]
	v_mov_b32_e32 v153, v5
	;; [unrolled: 4-line block ×5, first 2 shown]
	v_pk_add_f32 v[0:1], v[196:197], v[0:1]
	v_pk_add_f32 v[2:3], v[164:165], v[2:3]
	ds_write2_b64 v37, v[0:1], v[2:3] offset0:12 offset1:13
	v_pk_fma_f32 v[2:3], v[42:43], s[36:37], v[98:99] neg_lo:[0,0,1] neg_hi:[0,0,1]
	v_pk_fma_f32 v[0:1], v[46:47], s[14:15], v[90:91] neg_lo:[0,0,1] neg_hi:[0,0,1]
	v_mov_b32_e32 v97, v3
	v_pk_fma_f32 v[2:3], v[40:41], s[28:29], v[102:103] neg_lo:[0,0,1] neg_hi:[0,0,1]
	v_mov_b32_e32 v89, v1
	v_mov_b32_e32 v101, v3
	v_pk_fma_f32 v[2:3], v[38:39], s[38:39], v[108:109] neg_lo:[0,0,1] neg_hi:[0,0,1]
	v_pk_fma_f32 v[0:1], v[44:45], s[20:21], v[54:55] neg_lo:[0,0,1] neg_hi:[0,0,1]
	v_mov_b32_e32 v107, v3
	v_pk_fma_f32 v[2:3], v[28:29], s[10:11], v[112:113] neg_lo:[0,0,1] neg_hi:[0,0,1]
	v_mov_b32_e32 v93, v1
	v_mov_b32_e32 v111, v3
	v_pk_fma_f32 v[2:3], v[132:133], s[16:17], v[116:117] neg_lo:[0,0,1] neg_hi:[0,0,1]
	v_pk_add_f32 v[0:1], v[6:7], v[88:89]
	v_mov_b32_e32 v115, v3
	v_pk_fma_f32 v[2:3], v[20:21], s[22:23], v[120:121] neg_lo:[0,0,1] neg_hi:[0,0,1]
	v_pk_fma_f32 v[4:5], v[42:43], s[20:21], v[66:67] neg_lo:[0,0,1] neg_hi:[0,0,1]
	v_mov_b32_e32 v119, v3
	v_accvgpr_read_b32 v2, a26
	v_accvgpr_read_b32 v3, a27
	v_pk_fma_f32 v[2:3], v[46:47], s[12:13], v[2:3] neg_lo:[0,0,1] neg_hi:[0,0,1]
	v_pk_add_f32 v[0:1], v[92:93], v[0:1]
	v_mov_b32_e32 v57, v3
	v_pk_fma_f32 v[2:3], v[44:45], s[16:17], v[58:59] neg_lo:[0,0,1] neg_hi:[0,0,1]
	v_mov_b32_e32 v65, v5
	v_mov_b32_e32 v61, v3
	v_pk_add_f32 v[2:3], v[6:7], v[56:57]
	v_pk_fma_f32 v[4:5], v[40:41], s[24:25], v[70:71] neg_lo:[0,0,1] neg_hi:[0,0,1]
	v_pk_add_f32 v[2:3], v[60:61], v[2:3]
	v_pk_add_f32 v[0:1], v[96:97], v[0:1]
	;; [unrolled: 1-line block ×3, first 2 shown]
	v_mov_b32_e32 v69, v5
	v_pk_fma_f32 v[4:5], v[38:39], s[26:27], v[74:75] neg_lo:[0,0,1] neg_hi:[0,0,1]
	v_pk_add_f32 v[0:1], v[100:101], v[0:1]
	v_pk_add_f32 v[2:3], v[68:69], v[2:3]
	v_mov_b32_e32 v73, v5
	v_pk_fma_f32 v[4:5], v[28:29], s[28:29], v[78:79] neg_lo:[0,0,1] neg_hi:[0,0,1]
	v_pk_add_f32 v[0:1], v[106:107], v[0:1]
	v_pk_add_f32 v[2:3], v[72:73], v[2:3]
	;; [unrolled: 4-line block ×4, first 2 shown]
	v_mov_b32_e32 v85, v5
	v_pk_add_f32 v[0:1], v[118:119], v[0:1]
	v_pk_add_f32 v[2:3], v[84:85], v[2:3]
	ds_write2_b64 v37, v[0:1], v[2:3] offset0:14 offset1:15
	v_accvgpr_read_b32 v0, a4
	v_accvgpr_read_b32 v1, a5
	;; [unrolled: 1-line block ×3, first 2 shown]
	v_pk_fma_f32 v[0:1], v[46:47], s[10:11], v[0:1] neg_lo:[0,0,1] neg_hi:[0,0,1]
	v_accvgpr_read_b32 v3, a9
	v_accvgpr_read_b32 v0, a2
	v_pk_fma_f32 v[2:3], v[44:45], s[12:13], v[2:3] neg_lo:[0,0,1] neg_hi:[0,0,1]
	v_pk_add_f32 v[0:1], v[6:7], v[0:1]
	v_accvgpr_read_b32 v2, a6
	v_pk_add_f32 v[0:1], v[2:3], v[0:1]
	v_accvgpr_read_b32 v2, a12
	v_accvgpr_read_b32 v3, a13
	v_pk_fma_f32 v[2:3], v[42:43], s[14:15], v[2:3] neg_lo:[0,0,1] neg_hi:[0,0,1]
	v_mov_b32_e32 v70, v27
	v_accvgpr_read_b32 v2, a10
	v_pk_add_f32 v[0:1], v[2:3], v[0:1]
	v_accvgpr_read_b32 v2, a16
	v_accvgpr_read_b32 v3, a17
	v_pk_fma_f32 v[2:3], v[40:41], s[16:17], v[2:3] neg_lo:[0,0,1] neg_hi:[0,0,1]
	v_mov_b32_e32 v71, v49
	;; [unrolled: 6-line block ×3, first 2 shown]
	v_accvgpr_read_b32 v2, a28
	v_pk_add_f32 v[0:1], v[2:3], v[0:1]
	v_accvgpr_read_b32 v2, a20
	v_accvgpr_read_b32 v3, a21
	v_pk_fma_f32 v[2:3], v[28:29], s[20:21], v[2:3] neg_lo:[0,0,1] neg_hi:[0,0,1]
	v_accvgpr_read_b32 v69, a1
	v_mov_b32_e32 v27, v3
	v_accvgpr_read_b32 v2, a22
	v_accvgpr_read_b32 v3, a23
	v_pk_fma_f32 v[2:3], v[132:133], s[22:23], v[2:3] neg_lo:[0,0,1] neg_hi:[0,0,1]
	v_pk_add_f32 v[0:1], v[26:27], v[0:1]
	v_mov_b32_e32 v49, v3
	v_accvgpr_read_b32 v2, a24
	v_accvgpr_read_b32 v3, a25
	v_pk_fma_f32 v[2:3], v[20:21], s[24:25], v[2:3] neg_lo:[0,0,1] neg_hi:[0,0,1]
	v_pk_add_f32 v[0:1], v[48:49], v[0:1]
	v_mov_b32_e32 v53, v3
	v_accvgpr_read_b32 v73, a0
	v_pk_add_f32 v[0:1], v[52:53], v[0:1]
	ds_write_b64 v37, v[0:1] offset:128
.LBB0_15:
	s_or_b64 exec, exec, s[4:5]
	v_add_u32_e32 v3, 0x99, v36
	s_mov_b32 s4, 0xf0f1
	v_add_u32_e32 v0, 0x132, v36
	v_mul_u32_u24_sdwa v1, v3, s4 dst_sel:DWORD dst_unused:UNUSED_PAD src0_sel:WORD_0 src1_sel:DWORD
	v_add_u32_e32 v2, 0x1cb, v36
	v_lshrrev_b32_e32 v37, 20, v1
	v_mul_u32_u24_sdwa v1, v0, s4 dst_sel:DWORD dst_unused:UNUSED_PAD src0_sel:WORD_0 src1_sel:DWORD
	v_lshrrev_b32_e32 v52, 20, v1
	v_mul_u32_u24_sdwa v4, v2, s4 dst_sel:DWORD dst_unused:UNUSED_PAD src0_sel:WORD_0 src1_sel:DWORD
	v_mul_lo_u16_e32 v1, 17, v52
	v_lshrrev_b32_e32 v54, 20, v4
	v_sub_u16_e32 v53, v0, v1
	v_mul_lo_u16_e32 v4, 17, v54
	v_lshlrev_b32_e32 v1, 4, v53
	v_sub_u16_e32 v55, v2, v4
	s_load_dwordx2 s[2:3], s[2:3], 0x0
	s_waitcnt lgkmcnt(0)
	s_barrier
	v_lshlrev_b32_e32 v12, 4, v55
	global_load_dwordx4 v[4:7], v1, s[8:9]
	global_load_dwordx4 v[8:11], v12, s[8:9]
	v_mul_lo_u16_e32 v1, 17, v37
	v_sub_u16_e32 v56, v3, v1
	v_lshlrev_b32_e32 v1, 4, v56
	s_movk_i32 s4, 0xf1
	global_load_dwordx4 v[14:17], v1, s[8:9]
	v_mul_lo_u16_sdwa v1, v36, s4 dst_sel:DWORD dst_unused:UNUSED_PAD src0_sel:BYTE_0 src1_sel:DWORD
	v_lshrrev_b16_e32 v58, 12, v1
	v_mul_lo_u16_e32 v1, 17, v58
	v_mov_b32_e32 v57, 4
	v_sub_u16_e32 v59, v36, v1
	v_lshlrev_b32_sdwa v1, v57, v59 dst_sel:DWORD dst_unused:UNUSED_PAD src0_sel:DWORD src1_sel:BYTE_0
	global_load_dwordx4 v[18:21], v1, s[8:9]
	v_add_u32_e32 v1, 0x1c00, v69
	ds_read2_b64 v[22:25], v70 offset0:100 offset1:253
	ds_read2_b64 v[26:29], v72 offset0:47 offset1:200
	;; [unrolled: 1-line block ×3, first 2 shown]
	ds_read_b64 v[30:31], v69 offset:13464
	ds_read2_b64 v[42:45], v69 offset1:153
	ds_read2_b32 v[46:47], v1 offset0:44 offset1:45
	s_mov_b32 s10, 0x5040100
	s_movk_i32 s4, 0x198
	v_perm_b32 v52, v54, v52, s10
	v_mov_b32_e32 v66, 3
	v_pk_mul_lo_u16 v52, v52, s4 op_sel_hi:[1,0]
	v_lshlrev_b32_sdwa v54, v66, v59 dst_sel:DWORD dst_unused:UNUSED_PAD src0_sel:DWORD src1_sel:BYTE_0
	v_and_b32_e32 v59, 0xfff8, v52
	v_lshrrev_b32_e32 v52, 16, v52
	v_lshlrev_b32_e32 v55, 3, v55
	v_mul_u32_u24_e32 v58, 0x198, v58
	v_lshlrev_b32_e32 v53, 3, v53
	v_add3_u32 v68, 0, v52, v55
	s_waitcnt lgkmcnt(0)
	v_mov_b32_e32 v52, v47
	v_mul_u32_u24_e32 v37, 0x198, v37
	v_lshlrev_b32_e32 v56, 3, v56
	v_add3_u32 v67, 0, v58, v54
	v_add3_u32 v59, 0, v59, v53
	;; [unrolled: 1-line block ×3, first 2 shown]
	s_mov_b32 s4, 0x3f5db3d7
	s_mov_b32 s5, 0xbf5db3d7
	v_lshl_add_u32 v12, v2, 3, 0
	v_lshl_add_u32 v13, v0, 3, 0
	ds_read_b64 v[48:49], v12
	ds_read_b64 v[50:51], v13
	s_waitcnt lgkmcnt(0)
	s_barrier
	s_mov_b32 s11, 0xa0a1
	s_waitcnt vmcnt(3)
	v_pk_mul_f32 v[52:53], v[52:53], v[4:5] op_sel_hi:[0,1]
	s_waitcnt vmcnt(2)
	v_pk_mul_f32 v[54:55], v[26:27], v[8:9] op_sel:[0,1]
	v_mov_b32_e32 v56, v11
	v_pk_fma_f32 v[64:65], v[26:27], v[8:9], v[54:55] op_sel:[0,0,1] op_sel_hi:[1,1,0] neg_lo:[0,0,1] neg_hi:[0,0,1]
	v_pk_fma_f32 v[8:9], v[26:27], v[8:9], v[54:55] op_sel:[0,0,1] op_sel_hi:[1,0,0]
	v_pk_fma_f32 v[54:55], v[4:5], v[46:47], v[52:53] op_sel:[0,0,1] op_sel_hi:[1,1,0] neg_lo:[0,0,1] neg_hi:[0,0,1]
	s_waitcnt vmcnt(1)
	v_pk_mul_f32 v[60:61], v[14:15], v[24:25] op_sel:[0,1]
	v_pk_mul_f32 v[62:63], v[16:17], v[38:39] op_sel:[0,1]
	v_pk_fma_f32 v[4:5], v[4:5], v[46:47], v[52:53] op_sel:[0,0,1] op_sel_hi:[1,0,0]
	v_pk_fma_f32 v[52:53], v[14:15], v[24:25], v[60:61] op_sel:[0,0,1] op_sel_hi:[1,1,0] neg_lo:[0,0,1] neg_hi:[0,0,1]
	v_pk_fma_f32 v[14:15], v[14:15], v[24:25], v[60:61] op_sel:[0,0,1] op_sel_hi:[1,0,0]
	v_pk_mul_f32 v[26:27], v[30:31], v[56:57] op_sel_hi:[1,0]
	v_pk_fma_f32 v[24:25], v[16:17], v[38:39], v[62:63] op_sel:[0,0,1] op_sel_hi:[1,1,0] neg_lo:[0,0,1] neg_hi:[0,0,1]
	v_mov_b32_e32 v53, v15
	v_pk_fma_f32 v[14:15], v[16:17], v[38:39], v[62:63] op_sel:[0,0,1] op_sel_hi:[1,0,0]
	s_waitcnt vmcnt(0)
	v_pk_mul_f32 v[16:17], v[18:19], v[22:23] op_sel:[0,1]
	v_mov_b32_e32 v65, v9
	v_pk_fma_f32 v[8:9], v[30:31], v[10:11], v[26:27] op_sel:[0,0,1] op_sel_hi:[1,1,0] neg_lo:[0,0,1] neg_hi:[0,0,1]
	v_pk_fma_f32 v[10:11], v[30:31], v[10:11], v[26:27] op_sel:[0,0,1] op_sel_hi:[1,0,0]
	v_pk_fma_f32 v[26:27], v[18:19], v[22:23], v[16:17] op_sel:[0,0,1] op_sel_hi:[1,1,0] neg_lo:[0,0,1] neg_hi:[0,0,1]
	v_pk_fma_f32 v[16:17], v[18:19], v[22:23], v[16:17] op_sel:[0,0,1] op_sel_hi:[1,0,0]
	v_mov_b32_e32 v25, v15
	v_mov_b32_e32 v27, v17
	v_pk_mul_f32 v[16:17], v[20:21], v[28:29] op_sel:[0,1]
	v_mov_b32_e32 v58, v7
	v_pk_fma_f32 v[18:19], v[20:21], v[28:29], v[16:17] op_sel:[0,0,1] op_sel_hi:[1,1,0] neg_lo:[0,0,1] neg_hi:[0,0,1]
	v_pk_fma_f32 v[16:17], v[20:21], v[28:29], v[16:17] op_sel:[0,0,1] op_sel_hi:[1,0,0]
	v_pk_mul_f32 v[46:47], v[40:41], v[58:59] op_sel_hi:[1,0]
	v_mov_b32_e32 v19, v17
	v_pk_add_f32 v[16:17], v[42:43], v[26:27]
	v_pk_add_f32 v[20:21], v[26:27], v[18:19]
	;; [unrolled: 1-line block ×3, first 2 shown]
	v_pk_add_f32 v[18:19], v[26:27], v[18:19] neg_lo:[0,1] neg_hi:[0,1]
	v_pk_fma_f32 v[20:21], v[20:21], 0.5, v[42:43] op_sel_hi:[1,0,1] neg_lo:[1,0,0] neg_hi:[1,0,0]
	v_pk_mul_f32 v[18:19], v[18:19], s[4:5] op_sel_hi:[1,0]
	v_mov_b32_e32 v55, v5
	v_pk_add_f32 v[22:23], v[20:21], v[18:19] op_sel:[0,1] op_sel_hi:[1,0]
	v_pk_add_f32 v[18:19], v[20:21], v[18:19] op_sel:[0,1] op_sel_hi:[1,0] neg_lo:[0,1] neg_hi:[0,1]
	v_mov_b32_e32 v20, v22
	v_mov_b32_e32 v21, v19
	;; [unrolled: 1-line block ×3, first 2 shown]
	ds_write2_b64 v67, v[16:17], v[20:21] offset1:17
	ds_write_b64 v67, v[18:19] offset:272
	v_pk_add_f32 v[16:17], v[52:53], v[24:25]
	v_pk_add_f32 v[18:19], v[52:53], v[24:25] neg_lo:[0,1] neg_hi:[0,1]
	v_pk_fma_f32 v[16:17], v[16:17], 0.5, v[44:45] op_sel_hi:[1,0,1] neg_lo:[1,0,0] neg_hi:[1,0,0]
	v_pk_mul_f32 v[18:19], v[18:19], s[4:5] op_sel_hi:[1,0]
	v_pk_fma_f32 v[4:5], v[40:41], v[6:7], v[46:47] op_sel:[0,0,1] op_sel_hi:[1,1,0] neg_lo:[0,0,1] neg_hi:[0,0,1]
	v_pk_fma_f32 v[6:7], v[40:41], v[6:7], v[46:47] op_sel:[0,0,1] op_sel_hi:[1,0,0]
	v_pk_add_f32 v[14:15], v[44:45], v[52:53]
	v_pk_add_f32 v[20:21], v[16:17], v[18:19] op_sel:[0,1] op_sel_hi:[1,0]
	v_pk_add_f32 v[16:17], v[16:17], v[18:19] op_sel:[0,1] op_sel_hi:[1,0] neg_lo:[0,1] neg_hi:[0,1]
	v_mov_b32_e32 v5, v7
	v_pk_add_f32 v[6:7], v[50:51], v[54:55]
	v_pk_add_f32 v[14:15], v[14:15], v[24:25]
	v_mov_b32_e32 v18, v20
	v_mov_b32_e32 v19, v17
	v_pk_add_f32 v[6:7], v[6:7], v[4:5]
	ds_write2_b64 v37, v[14:15], v[18:19] offset1:17
	v_pk_add_f32 v[14:15], v[54:55], v[4:5]
	v_pk_add_f32 v[4:5], v[54:55], v[4:5] neg_lo:[0,1] neg_hi:[0,1]
	v_mov_b32_e32 v17, v21
	v_pk_fma_f32 v[14:15], v[14:15], 0.5, v[50:51] op_sel_hi:[1,0,1] neg_lo:[1,0,0] neg_hi:[1,0,0]
	v_pk_mul_f32 v[4:5], v[4:5], s[4:5] op_sel_hi:[1,0]
	ds_write_b64 v37, v[16:17] offset:272
	v_pk_add_f32 v[16:17], v[14:15], v[4:5] op_sel:[0,1] op_sel_hi:[1,0]
	v_pk_add_f32 v[4:5], v[14:15], v[4:5] op_sel:[0,1] op_sel_hi:[1,0] neg_lo:[0,1] neg_hi:[0,1]
	v_mov_b32_e32 v9, v11
	v_mov_b32_e32 v14, v16
	v_mov_b32_e32 v15, v5
	v_mov_b32_e32 v5, v17
	ds_write2_b64 v59, v[6:7], v[14:15] offset1:17
	ds_write_b64 v59, v[4:5] offset:272
	v_pk_add_f32 v[4:5], v[64:65], v[8:9]
	v_pk_add_f32 v[6:7], v[64:65], v[8:9] neg_lo:[0,1] neg_hi:[0,1]
	v_pk_add_f32 v[10:11], v[48:49], v[64:65]
	v_pk_fma_f32 v[4:5], v[4:5], 0.5, v[48:49] op_sel_hi:[1,0,1] neg_lo:[1,0,0] neg_hi:[1,0,0]
	v_pk_mul_f32 v[6:7], v[6:7], s[4:5] op_sel_hi:[1,0]
	v_pk_add_f32 v[10:11], v[10:11], v[8:9]
	v_pk_add_f32 v[8:9], v[4:5], v[6:7] op_sel:[0,1] op_sel_hi:[1,0]
	v_pk_add_f32 v[4:5], v[4:5], v[6:7] op_sel:[0,1] op_sel_hi:[1,0] neg_lo:[0,1] neg_hi:[0,1]
	v_mov_b32_e32 v6, v8
	v_mov_b32_e32 v7, v5
	;; [unrolled: 1-line block ×3, first 2 shown]
	ds_write_b64 v68, v[4:5] offset:272
	v_mul_u32_u24_sdwa v4, v2, s11 dst_sel:DWORD dst_unused:UNUSED_PAD src0_sel:WORD_0 src1_sel:DWORD
	v_lshrrev_b32_e32 v30, 21, v4
	v_mul_lo_u16_e32 v4, 51, v30
	v_sub_u16_e32 v31, v2, v4
	v_lshlrev_b32_e32 v4, 4, v31
	ds_write2_b64 v68, v[10:11], v[6:7] offset1:17
	s_waitcnt lgkmcnt(0)
	s_barrier
	global_load_dwordx4 v[4:7], v4, s[8:9] offset:272
	v_mul_u32_u24_sdwa v8, v0, s11 dst_sel:DWORD dst_unused:UNUSED_PAD src0_sel:WORD_0 src1_sel:DWORD
	v_lshrrev_b32_e32 v37, 21, v8
	v_mul_lo_u16_e32 v8, 51, v37
	v_mul_u32_u24_sdwa v14, v3, s11 dst_sel:DWORD dst_unused:UNUSED_PAD src0_sel:WORD_0 src1_sel:DWORD
	v_sub_u16_e32 v42, v0, v8
	v_lshrrev_b32_e32 v43, 21, v14
	v_lshlrev_b32_e32 v8, 4, v42
	v_mul_lo_u16_e32 v14, 51, v43
	global_load_dwordx4 v[8:11], v8, s[8:9] offset:272
	v_sub_u16_e32 v44, v3, v14
	v_lshlrev_b32_e32 v3, 4, v44
	s_movk_i32 s11, 0xa1
	global_load_dwordx4 v[14:17], v3, s[8:9] offset:272
	v_mul_lo_u16_sdwa v3, v36, s11 dst_sel:DWORD dst_unused:UNUSED_PAD src0_sel:BYTE_0 src1_sel:DWORD
	v_lshrrev_b16_e32 v45, 13, v3
	v_mul_lo_u16_e32 v3, 51, v45
	v_sub_u16_e32 v46, v36, v3
	v_lshlrev_b32_sdwa v3, v57, v46 dst_sel:DWORD dst_unused:UNUSED_PAD src0_sel:DWORD src1_sel:BYTE_0
	global_load_dwordx4 v[18:21], v3, s[8:9] offset:272
	v_add_u32_e32 v3, 0x2400, v69
	ds_read2_b64 v[22:25], v70 offset0:100 offset1:253
	ds_read2_b64 v[26:29], v3 offset0:72 offset1:225
	;; [unrolled: 1-line block ×3, first 2 shown]
	s_movk_i32 s11, 0x4c8
	v_perm_b32 v30, v30, v37, s10
	v_pk_mul_lo_u16 v30, v30, s11 op_sel_hi:[1,0]
	v_mul_u32_u24_e32 v45, 0x4c8, v45
	v_lshlrev_b32_sdwa v46, v66, v46 dst_sel:DWORD dst_unused:UNUSED_PAD src0_sel:DWORD src1_sel:BYTE_0
	v_mul_u32_u24_e32 v43, 0x4c8, v43
	v_lshlrev_b32_e32 v44, 3, v44
	v_and_b32_e32 v37, 0xfff8, v30
	v_lshlrev_b32_e32 v42, 3, v42
	v_add_u32_e32 v60, 0x2e00, v69
	v_add3_u32 v52, 0, v45, v46
	v_add3_u32 v53, 0, v43, v44
	;; [unrolled: 1-line block ×3, first 2 shown]
	v_lshrrev_b32_e32 v30, 16, v30
	v_lshlrev_b32_e32 v31, 3, v31
	ds_read2_b64 v[42:45], v60 offset0:58 offset1:211
	v_add3_u32 v54, 0, v30, v31
	s_movk_i32 s10, 0x358b
	v_add_u32_e32 v61, 0x800, v69
	s_waitcnt vmcnt(3) lgkmcnt(1)
	v_pk_mul_f32 v[30:31], v[40:41], v[4:5] op_sel:[0,1]
	s_nop 0
	v_pk_fma_f32 v[46:47], v[40:41], v[4:5], v[30:31] op_sel:[0,0,1] op_sel_hi:[1,1,0] neg_lo:[0,0,1] neg_hi:[0,0,1]
	v_pk_fma_f32 v[4:5], v[40:41], v[4:5], v[30:31] op_sel:[0,0,1] op_sel_hi:[1,0,0]
	ds_read_b64 v[30:31], v12
	v_mov_b32_e32 v4, v7
	v_mov_b32_e32 v47, v5
	s_waitcnt lgkmcnt(1)
	v_pk_mul_f32 v[4:5], v[44:45], v[4:5] op_sel_hi:[1,0]
	s_nop 0
	v_pk_fma_f32 v[40:41], v[44:45], v[6:7], v[4:5] op_sel:[0,0,1] op_sel_hi:[1,1,0] neg_lo:[0,0,1] neg_hi:[0,0,1]
	v_pk_fma_f32 v[4:5], v[44:45], v[6:7], v[4:5] op_sel:[0,0,1] op_sel_hi:[1,0,0]
	ds_read_b64 v[44:45], v13
	v_mov_b32_e32 v41, v5
	s_waitcnt lgkmcnt(1)
	v_pk_add_f32 v[4:5], v[30:31], v[46:47]
	s_nop 0
	v_pk_add_f32 v[48:49], v[4:5], v[40:41]
	s_waitcnt vmcnt(2)
	v_pk_mul_f32 v[4:5], v[8:9], v[38:39] op_sel:[0,1]
	s_nop 0
	v_pk_fma_f32 v[50:51], v[8:9], v[38:39], v[4:5] op_sel:[0,0,1] op_sel_hi:[1,1,0] neg_lo:[0,0,1] neg_hi:[0,0,1]
	v_pk_fma_f32 v[4:5], v[8:9], v[38:39], v[4:5] op_sel:[0,0,1] op_sel_hi:[1,0,0]
	s_waitcnt vmcnt(1)
	v_pk_mul_f32 v[38:39], v[14:15], v[24:25] op_sel:[0,1]
	v_mov_b32_e32 v4, v11
	v_mov_b32_e32 v51, v5
	v_pk_mul_f32 v[4:5], v[42:43], v[4:5] op_sel_hi:[1,0]
	s_nop 0
	v_pk_fma_f32 v[8:9], v[42:43], v[10:11], v[4:5] op_sel:[0,0,1] op_sel_hi:[1,1,0] neg_lo:[0,0,1] neg_hi:[0,0,1]
	v_pk_fma_f32 v[4:5], v[42:43], v[10:11], v[4:5] op_sel:[0,0,1] op_sel_hi:[1,0,0]
	v_pk_fma_f32 v[42:43], v[14:15], v[24:25], v[38:39] op_sel:[0,0,1] op_sel_hi:[1,1,0] neg_lo:[0,0,1] neg_hi:[0,0,1]
	v_mov_b32_e32 v9, v5
	s_waitcnt lgkmcnt(0)
	v_pk_add_f32 v[4:5], v[44:45], v[50:51]
	v_pk_fma_f32 v[14:15], v[14:15], v[24:25], v[38:39] op_sel:[0,0,1] op_sel_hi:[1,0,0]
	v_pk_add_f32 v[10:11], v[4:5], v[8:9]
	ds_read2_b64 v[4:7], v69 offset1:153
	v_mov_b32_e32 v43, v15
	v_pk_mul_f32 v[14:15], v[16:17], v[28:29] op_sel:[0,1]
	s_waitcnt lgkmcnt(0)
	v_pk_fma_f32 v[24:25], v[16:17], v[28:29], v[14:15] op_sel:[0,0,1] op_sel_hi:[1,1,0] neg_lo:[0,0,1] neg_hi:[0,0,1]
	v_pk_fma_f32 v[14:15], v[16:17], v[28:29], v[14:15] op_sel:[0,0,1] op_sel_hi:[1,0,0]
	s_waitcnt vmcnt(0)
	v_pk_mul_f32 v[16:17], v[18:19], v[22:23] op_sel:[0,1]
	v_mov_b32_e32 v25, v15
	v_pk_fma_f32 v[28:29], v[18:19], v[22:23], v[16:17] op_sel:[0,0,1] op_sel_hi:[1,1,0] neg_lo:[0,0,1] neg_hi:[0,0,1]
	v_pk_fma_f32 v[16:17], v[18:19], v[22:23], v[16:17] op_sel:[0,0,1] op_sel_hi:[1,0,0]
	s_barrier
	v_mov_b32_e32 v29, v17
	v_pk_mul_f32 v[16:17], v[20:21], v[26:27] op_sel:[0,1]
	s_nop 0
	v_pk_fma_f32 v[18:19], v[20:21], v[26:27], v[16:17] op_sel:[0,0,1] op_sel_hi:[1,1,0] neg_lo:[0,0,1] neg_hi:[0,0,1]
	v_pk_fma_f32 v[16:17], v[20:21], v[26:27], v[16:17] op_sel:[0,0,1] op_sel_hi:[1,0,0]
	v_pk_add_f32 v[14:15], v[6:7], v[42:43]
	v_mov_b32_e32 v19, v17
	v_pk_add_f32 v[16:17], v[4:5], v[28:29]
	v_pk_add_f32 v[20:21], v[28:29], v[18:19]
	v_pk_add_f32 v[16:17], v[16:17], v[18:19]
	v_pk_add_f32 v[18:19], v[28:29], v[18:19] neg_lo:[0,1] neg_hi:[0,1]
	v_pk_fma_f32 v[4:5], v[20:21], 0.5, v[4:5] op_sel_hi:[1,0,1] neg_lo:[1,0,0] neg_hi:[1,0,0]
	v_pk_mul_f32 v[18:19], v[18:19], s[4:5] op_sel_hi:[1,0]
	v_pk_add_f32 v[14:15], v[14:15], v[24:25]
	v_pk_add_f32 v[20:21], v[4:5], v[18:19] op_sel:[0,1] op_sel_hi:[1,0]
	v_pk_add_f32 v[4:5], v[4:5], v[18:19] op_sel:[0,1] op_sel_hi:[1,0] neg_lo:[0,1] neg_hi:[0,1]
	v_mov_b32_e32 v18, v20
	v_mov_b32_e32 v19, v5
	;; [unrolled: 1-line block ×3, first 2 shown]
	ds_write_b64 v52, v[4:5] offset:816
	v_pk_add_f32 v[4:5], v[42:43], v[24:25]
	ds_write2_b64 v52, v[16:17], v[18:19] offset1:51
	v_pk_fma_f32 v[4:5], v[4:5], 0.5, v[6:7] op_sel_hi:[1,0,1] neg_lo:[1,0,0] neg_hi:[1,0,0]
	v_pk_add_f32 v[6:7], v[42:43], v[24:25] neg_lo:[0,1] neg_hi:[0,1]
	s_nop 0
	v_pk_mul_f32 v[6:7], v[6:7], s[4:5] op_sel_hi:[1,0]
	s_nop 0
	v_pk_add_f32 v[16:17], v[4:5], v[6:7] op_sel:[0,1] op_sel_hi:[1,0]
	v_pk_add_f32 v[4:5], v[4:5], v[6:7] op_sel:[0,1] op_sel_hi:[1,0] neg_lo:[0,1] neg_hi:[0,1]
	v_mov_b32_e32 v6, v16
	v_mov_b32_e32 v7, v5
	;; [unrolled: 1-line block ×3, first 2 shown]
	ds_write2_b64 v53, v[14:15], v[6:7] offset1:51
	ds_write_b64 v53, v[4:5] offset:816
	v_pk_add_f32 v[4:5], v[50:51], v[8:9]
	v_pk_add_f32 v[6:7], v[50:51], v[8:9] neg_lo:[0,1] neg_hi:[0,1]
	v_pk_fma_f32 v[4:5], v[4:5], 0.5, v[44:45] op_sel_hi:[1,0,1] neg_lo:[1,0,0] neg_hi:[1,0,0]
	v_pk_mul_f32 v[6:7], v[6:7], s[4:5] op_sel_hi:[1,0]
	s_nop 0
	v_pk_add_f32 v[8:9], v[4:5], v[6:7] op_sel:[0,1] op_sel_hi:[1,0]
	v_pk_add_f32 v[4:5], v[4:5], v[6:7] op_sel:[0,1] op_sel_hi:[1,0] neg_lo:[0,1] neg_hi:[0,1]
	v_mov_b32_e32 v6, v8
	v_mov_b32_e32 v7, v5
	v_mov_b32_e32 v5, v9
	ds_write2_b64 v37, v[10:11], v[6:7] offset1:51
	ds_write_b64 v37, v[4:5] offset:816
	v_pk_add_f32 v[4:5], v[46:47], v[40:41]
	v_pk_add_f32 v[6:7], v[46:47], v[40:41] neg_lo:[0,1] neg_hi:[0,1]
	v_pk_fma_f32 v[4:5], v[4:5], 0.5, v[30:31] op_sel_hi:[1,0,1] neg_lo:[1,0,0] neg_hi:[1,0,0]
	v_pk_mul_f32 v[6:7], v[6:7], s[4:5] op_sel_hi:[1,0]
	v_mov_b32_e32 v37, 0
	v_pk_add_f32 v[8:9], v[4:5], v[6:7] op_sel:[0,1] op_sel_hi:[1,0]
	v_pk_add_f32 v[4:5], v[4:5], v[6:7] op_sel:[0,1] op_sel_hi:[1,0] neg_lo:[0,1] neg_hi:[0,1]
	v_mov_b32_e32 v6, v8
	v_mov_b32_e32 v7, v5
	ds_write2_b64 v54, v[48:49], v[6:7] offset1:51
	v_mul_u32_u24_sdwa v6, v0, s10 dst_sel:DWORD dst_unused:UNUSED_PAD src0_sel:WORD_0 src1_sel:DWORD
	v_lshrrev_b32_e32 v6, 21, v6
	v_mul_lo_u16_e32 v6, 0x99, v6
	v_mov_b32_e32 v5, v9
	v_sub_u16_e32 v6, v0, v6
	ds_write_b64 v54, v[4:5] offset:816
	v_lshl_add_u64 v[4:5], v[36:37], 3, s[8:9]
	v_lshlrev_b32_e32 v42, 3, v6
	s_waitcnt lgkmcnt(0)
	s_barrier
	global_load_dwordx2 v[22:23], v42, s[8:9] offset:1088
	global_load_dwordx2 v[24:25], v[4:5], off offset:1088
	v_add_u32_e32 v4, 0x2fd, v36
	v_mul_u32_u24_sdwa v5, v4, s10 dst_sel:DWORD dst_unused:UNUSED_PAD src0_sel:WORD_0 src1_sel:DWORD
	v_lshrrev_b32_e32 v5, 21, v5
	v_mul_lo_u16_e32 v5, 0x99, v5
	v_sub_u16_e32 v4, v4, v5
	v_lshlrev_b32_e32 v43, 3, v4
	v_add_u32_e32 v4, 0x264, v36
	v_mul_u32_u24_sdwa v5, v4, s10 dst_sel:DWORD dst_unused:UNUSED_PAD src0_sel:WORD_0 src1_sel:DWORD
	v_lshrrev_b32_e32 v5, 21, v5
	v_mul_lo_u16_e32 v5, 0x99, v5
	v_sub_u16_e32 v4, v4, v5
	v_lshlrev_b32_e32 v44, 3, v4
	v_mul_u32_u24_sdwa v4, v2, s10 dst_sel:DWORD dst_unused:UNUSED_PAD src0_sel:WORD_0 src1_sel:DWORD
	v_lshrrev_b32_e32 v4, 21, v4
	global_load_dwordx2 v[26:27], v43, s[8:9] offset:1088
	global_load_dwordx2 v[28:29], v44, s[8:9] offset:1088
	v_mul_lo_u16_e32 v4, 0x99, v4
	v_sub_u16_e32 v4, v2, v4
	v_lshlrev_b32_e32 v45, 3, v4
	global_load_dwordx2 v[30:31], v45, s[8:9] offset:1088
	ds_read2_b64 v[4:7], v1 offset0:22 offset1:175
	ds_read2_b64 v[8:11], v3 offset0:72 offset1:225
	;; [unrolled: 1-line block ×3, first 2 shown]
	ds_read2_b64 v[18:21], v69 offset1:153
	v_add_u32_e32 v46, 0, v42
	v_add_u32_e32 v47, 0, v43
	;; [unrolled: 1-line block ×4, first 2 shown]
	s_mov_b64 s[10:11], 0x20f0
	s_waitcnt vmcnt(3) lgkmcnt(3)
	v_pk_mul_f32 v[38:39], v[24:25], v[4:5] op_sel:[0,1]
	s_nop 0
	v_pk_fma_f32 v[40:41], v[24:25], v[4:5], v[38:39] op_sel:[0,0,1] op_sel_hi:[1,1,0] neg_lo:[0,0,1] neg_hi:[0,0,1]
	v_pk_fma_f32 v[4:5], v[24:25], v[4:5], v[38:39] op_sel:[0,0,1] op_sel_hi:[1,0,0]
	s_nop 0
	v_mov_b32_e32 v41, v5
	v_pk_mul_f32 v[4:5], v[24:25], v[6:7] op_sel:[0,1]
	s_waitcnt lgkmcnt(0)
	v_pk_add_f32 v[38:39], v[18:19], v[40:41] neg_lo:[0,1] neg_hi:[0,1]
	v_pk_fma_f32 v[40:41], v[24:25], v[6:7], v[4:5] op_sel:[0,0,1] op_sel_hi:[1,1,0] neg_lo:[0,0,1] neg_hi:[0,0,1]
	v_pk_fma_f32 v[4:5], v[24:25], v[6:7], v[4:5] op_sel:[0,0,1] op_sel_hi:[1,0,0]
	v_pk_fma_f32 v[18:19], v[18:19], 2.0, v[38:39] op_sel_hi:[1,0,1] neg_lo:[0,0,1] neg_hi:[0,0,1]
	v_mov_b32_e32 v41, v5
	ds_read2_b64 v[4:7], v70 offset0:100 offset1:253
	v_pk_add_f32 v[24:25], v[20:21], v[40:41] neg_lo:[0,1] neg_hi:[0,1]
	s_waitcnt vmcnt(2)
	v_pk_mul_f32 v[40:41], v[16:17], v[26:27] op_sel:[0,1]
	s_nop 0
	v_pk_fma_f32 v[42:43], v[16:17], v[26:27], v[40:41] op_sel:[0,0,1] op_sel_hi:[1,1,0] neg_lo:[0,0,1] neg_hi:[0,0,1]
	v_pk_fma_f32 v[16:17], v[16:17], v[26:27], v[40:41] op_sel:[0,0,1] op_sel_hi:[1,0,0]
	s_waitcnt vmcnt(1)
	v_pk_mul_f32 v[26:27], v[28:29], v[14:15] op_sel:[0,1]
	v_pk_fma_f32 v[20:21], v[20:21], 2.0, v[24:25] op_sel_hi:[1,0,1] neg_lo:[0,0,1] neg_hi:[0,0,1]
	v_pk_fma_f32 v[40:41], v[28:29], v[14:15], v[26:27] op_sel:[0,0,1] op_sel_hi:[1,1,0] neg_lo:[0,0,1] neg_hi:[0,0,1]
	v_pk_fma_f32 v[14:15], v[28:29], v[14:15], v[26:27] op_sel:[0,0,1] op_sel_hi:[1,0,0]
	s_waitcnt vmcnt(0)
	v_pk_mul_f32 v[26:27], v[30:31], v[10:11] op_sel:[0,1]
	v_mov_b32_e32 v41, v15
	ds_read_b64 v[28:29], v12
	s_waitcnt lgkmcnt(1)
	v_pk_add_f32 v[14:15], v[4:5], v[40:41] neg_lo:[0,1] neg_hi:[0,1]
	v_pk_fma_f32 v[40:41], v[30:31], v[10:11], v[26:27] op_sel:[0,0,1] op_sel_hi:[1,1,0] neg_lo:[0,0,1] neg_hi:[0,0,1]
	v_pk_fma_f32 v[10:11], v[30:31], v[10:11], v[26:27] op_sel:[0,0,1] op_sel_hi:[1,0,0]
	v_pk_mul_f32 v[30:31], v[22:23], v[8:9] op_sel:[0,1]
	v_mov_b32_e32 v41, v11
	ds_read_b64 v[10:11], v13
	s_waitcnt lgkmcnt(1)
	v_pk_add_f32 v[26:27], v[28:29], v[40:41] neg_lo:[0,1] neg_hi:[0,1]
	v_pk_fma_f32 v[40:41], v[22:23], v[8:9], v[30:31] op_sel:[0,0,1] op_sel_hi:[1,1,0] neg_lo:[0,0,1] neg_hi:[0,0,1]
	v_pk_fma_f32 v[8:9], v[22:23], v[8:9], v[30:31] op_sel:[0,0,1] op_sel_hi:[1,0,0]
	s_waitcnt lgkmcnt(0)
	v_mov_b32_e32 v41, v9
	v_pk_add_f32 v[8:9], v[10:11], v[40:41] neg_lo:[0,1] neg_hi:[0,1]
	s_barrier
	v_pk_fma_f32 v[10:11], v[10:11], 2.0, v[8:9] op_sel_hi:[1,0,1] neg_lo:[0,0,1] neg_hi:[0,0,1]
	ds_write2_b64 v69, v[18:19], v[38:39] offset1:153
	v_add_u32_e32 v18, 0x1000, v46
	v_mov_b32_e32 v43, v17
	v_pk_fma_f32 v[28:29], v[28:29], 2.0, v[26:27] op_sel_hi:[1,0,1] neg_lo:[0,0,1] neg_hi:[0,0,1]
	ds_write2_b64 v61, v[20:21], v[24:25] offset0:50 offset1:203
	ds_write2_b64 v18, v[10:11], v[8:9] offset0:100 offset1:253
	v_add_u32_e32 v8, 0x1c00, v45
	v_pk_add_f32 v[16:17], v[6:7], v[42:43] neg_lo:[0,1] neg_hi:[0,1]
	v_pk_fma_f32 v[4:5], v[4:5], 2.0, v[14:15] op_sel_hi:[1,0,1] neg_lo:[0,0,1] neg_hi:[0,0,1]
	ds_write2_b64 v8, v[28:29], v[26:27] offset0:22 offset1:175
	v_add_u32_e32 v8, 0x2400, v44
	v_pk_fma_f32 v[6:7], v[6:7], 2.0, v[16:17] op_sel_hi:[1,0,1] neg_lo:[0,0,1] neg_hi:[0,0,1]
	ds_write2_b64 v8, v[4:5], v[14:15] offset0:72 offset1:225
	v_add_u32_e32 v4, 0x2e00, v47
	ds_write2_b64 v4, v[6:7], v[16:17] offset0:58 offset1:211
	v_mul_u32_u24_e32 v4, 5, v36
	v_lshlrev_b32_e32 v14, 3, v4
	s_waitcnt lgkmcnt(0)
	s_barrier
	global_load_dwordx4 v[4:7], v14, s[8:9] offset:2312
	global_load_dwordx4 v[8:11], v14, s[8:9] offset:2328
	global_load_dwordx2 v[30:31], v14, s[8:9] offset:2344
	v_mov_b32_e32 v15, v37
	v_lshl_add_u64 v[18:19], s[8:9], 0, v[14:15]
	v_add_co_u32_e32 v14, vcc, s33, v18
	v_lshl_add_u64 v[22:23], v[18:19], 0, s[10:11]
	s_nop 0
	v_addc_co_u32_e32 v15, vcc, 0, v19, vcc
	global_load_dwordx4 v[14:17], v[14:15], off offset:240
	s_nop 0
	global_load_dwordx4 v[18:21], v[22:23], off offset:16
	global_load_dwordx2 v[50:51], v[22:23], off offset:32
	ds_read2_b64 v[22:25], v71 offset0:75 offset1:228
	v_add_u32_e32 v26, 0x1600, v69
	ds_read2_b64 v[26:29], v26 offset0:61 offset1:214
	ds_read_b64 v[52:53], v13
	ds_read2_b64 v[38:41], v72 offset0:47 offset1:200
	ds_read2_b64 v[42:45], v73 offset0:97 offset1:250
	ds_read2_b64 v[46:49], v69 offset1:153
	ds_read_b64 v[54:55], v69 offset:13464
	s_waitcnt lgkmcnt(0)
	s_barrier
	v_cmp_ne_u32_e32 vcc, 0, v36
	s_waitcnt vmcnt(5)
	v_pk_mul_f32 v[56:57], v[4:5], v[52:53] op_sel:[0,1]
	s_nop 0
	v_pk_fma_f32 v[58:59], v[4:5], v[52:53], v[56:57] op_sel:[0,0,1] op_sel_hi:[1,1,0] neg_lo:[0,0,1] neg_hi:[0,0,1]
	v_pk_fma_f32 v[4:5], v[4:5], v[52:53], v[56:57] op_sel:[0,0,1] op_sel_hi:[1,0,0]
	s_nop 0
	v_mov_b32_e32 v59, v5
	v_pk_mul_f32 v[4:5], v[6:7], v[24:25] op_sel:[0,1]
	s_nop 0
	v_pk_fma_f32 v[52:53], v[6:7], v[24:25], v[4:5] op_sel:[0,0,1] op_sel_hi:[1,1,0] neg_lo:[0,0,1] neg_hi:[0,0,1]
	v_pk_fma_f32 v[4:5], v[6:7], v[24:25], v[4:5] op_sel:[0,0,1] op_sel_hi:[1,0,0]
	s_nop 0
	v_mov_b32_e32 v53, v5
	s_waitcnt vmcnt(4)
	v_pk_mul_f32 v[4:5], v[8:9], v[28:29] op_sel:[0,1]
	s_nop 0
	v_pk_fma_f32 v[6:7], v[8:9], v[28:29], v[4:5] op_sel:[0,0,1] op_sel_hi:[1,1,0] neg_lo:[0,0,1] neg_hi:[0,0,1]
	v_pk_fma_f32 v[4:5], v[8:9], v[28:29], v[4:5] op_sel:[0,0,1] op_sel_hi:[1,0,0]
	s_nop 0
	v_mov_b32_e32 v7, v5
	v_pk_mul_f32 v[4:5], v[10:11], v[40:41] op_sel:[0,1]
	v_pk_add_f32 v[24:25], v[58:59], v[6:7]
	v_pk_fma_f32 v[8:9], v[10:11], v[40:41], v[4:5] op_sel:[0,0,1] op_sel_hi:[1,1,0] neg_lo:[0,0,1] neg_hi:[0,0,1]
	v_pk_fma_f32 v[4:5], v[10:11], v[40:41], v[4:5] op_sel:[0,0,1] op_sel_hi:[1,0,0]
	s_nop 0
	v_mov_b32_e32 v9, v5
	s_waitcnt vmcnt(3)
	v_pk_mul_f32 v[4:5], v[30:31], v[44:45] op_sel:[0,1]
	s_nop 0
	v_pk_fma_f32 v[10:11], v[30:31], v[44:45], v[4:5] op_sel:[0,0,1] op_sel_hi:[1,1,0] neg_lo:[0,0,1] neg_hi:[0,0,1]
	v_pk_fma_f32 v[4:5], v[30:31], v[44:45], v[4:5] op_sel:[0,0,1] op_sel_hi:[1,0,0]
	s_waitcnt vmcnt(2)
	v_pk_mul_f32 v[30:31], v[22:23], v[14:15] op_sel:[0,1]
	v_mov_b32_e32 v11, v5
	v_pk_fma_f32 v[40:41], v[22:23], v[14:15], v[30:31] op_sel:[0,0,1] op_sel_hi:[1,1,0] neg_lo:[0,0,1] neg_hi:[0,0,1]
	v_pk_fma_f32 v[14:15], v[22:23], v[14:15], v[30:31] op_sel:[0,0,1] op_sel_hi:[1,0,0]
	v_pk_add_f32 v[4:5], v[46:47], v[52:53]
	v_mov_b32_e32 v14, v17
	v_mov_b32_e32 v41, v15
	v_pk_mul_f32 v[14:15], v[26:27], v[14:15] op_sel_hi:[1,0]
	v_pk_add_f32 v[4:5], v[4:5], v[8:9]
	v_pk_fma_f32 v[22:23], v[26:27], v[16:17], v[14:15] op_sel:[0,0,1] op_sel_hi:[1,1,0] neg_lo:[0,0,1] neg_hi:[0,0,1]
	v_pk_fma_f32 v[14:15], v[26:27], v[16:17], v[14:15] op_sel:[0,0,1] op_sel_hi:[1,0,0]
	v_pk_add_f32 v[24:25], v[24:25], v[10:11]
	v_mov_b32_e32 v23, v15
	s_waitcnt vmcnt(1)
	v_pk_mul_f32 v[14:15], v[38:39], v[18:19] op_sel:[0,1]
	v_pk_add_f32 v[28:29], v[4:5], v[24:25]
	v_pk_fma_f32 v[16:17], v[38:39], v[18:19], v[14:15] op_sel:[0,0,1] op_sel_hi:[1,1,0] neg_lo:[0,0,1] neg_hi:[0,0,1]
	v_pk_fma_f32 v[14:15], v[38:39], v[18:19], v[14:15] op_sel:[0,0,1] op_sel_hi:[1,0,0]
	v_pk_add_f32 v[38:39], v[52:53], v[8:9]
	v_mov_b32_e32 v14, v21
	v_mov_b32_e32 v17, v15
	v_pk_mul_f32 v[14:15], v[42:43], v[14:15] op_sel_hi:[1,0]
	v_pk_add_f32 v[26:27], v[40:41], v[16:17]
	v_pk_fma_f32 v[18:19], v[42:43], v[20:21], v[14:15] op_sel:[0,0,1] op_sel_hi:[1,1,0] neg_lo:[0,0,1] neg_hi:[0,0,1]
	v_pk_fma_f32 v[14:15], v[42:43], v[20:21], v[14:15] op_sel:[0,0,1] op_sel_hi:[1,0,0]
	v_pk_add_f32 v[8:9], v[52:53], v[8:9] neg_lo:[0,1] neg_hi:[0,1]
	v_mov_b32_e32 v19, v15
	s_waitcnt vmcnt(0)
	v_pk_mul_f32 v[14:15], v[54:55], v[50:51] op_sel:[0,1]
	v_pk_add_f32 v[44:45], v[6:7], v[10:11]
	v_pk_fma_f32 v[20:21], v[54:55], v[50:51], v[14:15] op_sel:[0,0,1] op_sel_hi:[1,1,0] neg_lo:[0,0,1] neg_hi:[0,0,1]
	v_pk_fma_f32 v[14:15], v[54:55], v[50:51], v[14:15] op_sel:[0,0,1] op_sel_hi:[1,0,0]
	v_pk_add_f32 v[4:5], v[4:5], v[24:25] neg_lo:[0,1] neg_hi:[0,1]
	v_mov_b32_e32 v21, v15
	v_pk_add_f32 v[14:15], v[48:49], v[22:23]
	v_pk_add_f32 v[26:27], v[26:27], v[20:21]
	v_pk_add_f32 v[14:15], v[14:15], v[18:19]
	v_pk_add_f32 v[24:25], v[22:23], v[18:19]
	v_pk_add_f32 v[30:31], v[14:15], v[26:27]
	ds_write2_b64 v69, v[28:29], v[30:31] offset1:153
	v_pk_add_f32 v[18:19], v[22:23], v[18:19] neg_lo:[0,1] neg_hi:[0,1]
	v_pk_add_f32 v[28:29], v[16:17], v[20:21]
	v_pk_fma_f32 v[38:39], v[38:39], 0.5, v[46:47] op_sel_hi:[1,0,1] neg_lo:[1,0,0] neg_hi:[1,0,0]
	v_pk_mul_f32 v[8:9], v[8:9], s[4:5] op_sel_hi:[1,0]
	v_pk_fma_f32 v[44:45], v[44:45], 0.5, v[58:59] op_sel_hi:[1,0,1] neg_lo:[1,0,0] neg_hi:[1,0,0]
	v_pk_add_f32 v[6:7], v[6:7], v[10:11] neg_lo:[0,1] neg_hi:[0,1]
	v_pk_fma_f32 v[24:25], v[24:25], 0.5, v[48:49] op_sel_hi:[1,0,1] neg_lo:[1,0,0] neg_hi:[1,0,0]
	v_pk_mul_f32 v[18:19], v[18:19], s[4:5] op_sel_hi:[1,0]
	v_pk_fma_f32 v[28:29], v[28:29], 0.5, v[40:41] op_sel_hi:[1,0,1] neg_lo:[1,0,0] neg_hi:[1,0,0]
	v_pk_add_f32 v[16:17], v[16:17], v[20:21] neg_lo:[0,1] neg_hi:[0,1]
	v_pk_add_f32 v[42:43], v[8:9], v[38:39] op_sel:[1,0] op_sel_hi:[0,1]
	v_pk_add_f32 v[8:9], v[38:39], v[8:9] op_sel:[0,1] op_sel_hi:[1,0] neg_lo:[0,1] neg_hi:[0,1]
	v_pk_fma_f32 v[10:11], v[6:7], s[4:5], v[44:45] op_sel:[0,0,1] op_sel_hi:[1,0,0]
	v_pk_fma_f32 v[6:7], v[6:7], s[4:5], v[44:45] op_sel:[0,0,1] op_sel_hi:[1,0,0] neg_lo:[1,0,0] neg_hi:[1,0,0]
	v_pk_add_f32 v[22:23], v[18:19], v[24:25] op_sel:[1,0] op_sel_hi:[0,1]
	v_pk_add_f32 v[18:19], v[24:25], v[18:19] op_sel:[0,1] op_sel_hi:[1,0] neg_lo:[0,1] neg_hi:[0,1]
	v_pk_fma_f32 v[20:21], v[16:17], s[4:5], v[28:29] op_sel:[0,0,1] op_sel_hi:[1,0,0]
	v_pk_fma_f32 v[16:17], v[16:17], s[4:5], v[28:29] op_sel:[0,0,1] op_sel_hi:[1,0,0] neg_lo:[1,0,0] neg_hi:[1,0,0]
	v_mov_b32_e32 v38, v8
	v_mov_b32_e32 v39, v43
	;; [unrolled: 1-line block ×4, first 2 shown]
	v_mul_f32_e32 v8, 0x3f5db3d7, v6
	v_mul_f32_e32 v43, 0xbf5db3d7, v11
	v_mov_b32_e32 v24, v18
	v_mov_b32_e32 v25, v23
	;; [unrolled: 1-line block ×4, first 2 shown]
	v_mul_f32_e32 v18, 0x3f5db3d7, v16
	v_mul_f32_e32 v23, 0xbf5db3d7, v21
	v_fmac_f32_e32 v8, 0.5, v11
	v_fmac_f32_e32 v43, 0.5, v6
	v_pk_mul_f32 v[6:7], v[44:45], 0.5 op_sel_hi:[1,0]
	v_fmac_f32_e32 v18, 0.5, v21
	v_fmac_f32_e32 v23, 0.5, v16
	v_pk_mul_f32 v[16:17], v[28:29], 0.5 op_sel_hi:[1,0]
	v_add_f32_e32 v10, v42, v8
	v_add_f32_e32 v11, v9, v43
	v_pk_fma_f32 v[6:7], v[44:45], s[4:5], v[6:7] op_sel:[0,0,1] op_sel_hi:[1,1,0] neg_lo:[0,0,1] neg_hi:[0,0,1]
	v_add_f32_e32 v20, v22, v18
	v_add_f32_e32 v21, v19, v23
	v_pk_fma_f32 v[16:17], v[28:29], s[4:5], v[16:17] op_sel:[0,0,1] op_sel_hi:[1,1,0] neg_lo:[0,0,1] neg_hi:[0,0,1]
	v_pk_add_f32 v[44:45], v[38:39], v[6:7]
	v_pk_add_f32 v[28:29], v[24:25], v[16:17]
	ds_write2_b64 v61, v[10:11], v[20:21] offset0:50 offset1:203
	ds_write2_b64 v70, v[44:45], v[28:29] offset0:100 offset1:253
	v_pk_add_f32 v[10:11], v[14:15], v[26:27] neg_lo:[0,1] neg_hi:[0,1]
	v_sub_f32_e32 v8, v42, v8
	v_sub_f32_e32 v9, v9, v43
	v_pk_add_f32 v[6:7], v[38:39], v[6:7] neg_lo:[0,1] neg_hi:[0,1]
	v_sub_f32_e32 v18, v22, v18
	v_sub_f32_e32 v19, v19, v23
	ds_write2_b64 v1, v[4:5], v[10:11] offset0:22 offset1:175
	ds_write2_b64 v3, v[8:9], v[18:19] offset0:72 offset1:225
	v_pk_add_f32 v[4:5], v[24:25], v[16:17] neg_lo:[0,1] neg_hi:[0,1]
	ds_write2_b64 v60, v[6:7], v[4:5] offset0:58 offset1:211
	s_waitcnt lgkmcnt(0)
	s_barrier
	ds_read_b64 v[10:11], v69
	s_add_u32 s4, s8, 0x38d8
	s_addc_u32 s5, s9, 0
	v_lshlrev_b32_e32 v1, 3, v36
	v_sub_u32_e32 v14, 0, v1
	v_lshl_add_u64 v[4:5], v[36:37], 3, s[4:5]
                                        ; implicit-def: $vgpr9
                                        ; implicit-def: $vgpr6_vgpr7
	s_and_saveexec_b64 s[8:9], vcc
	s_xor_b64 s[8:9], exec, s[8:9]
	s_cbranch_execz .LBB0_17
; %bb.16:
	global_load_dwordx2 v[6:7], v[4:5], off
	ds_read_b64 v[8:9], v14 offset:14688
	v_mov_b32_e32 v17, 0.5
	v_mov_b32_e32 v18, v17
	s_waitcnt lgkmcnt(0)
	v_pk_add_f32 v[20:21], v[8:9], v[10:11]
	v_pk_add_f32 v[8:9], v[10:11], v[8:9] neg_lo:[0,1] neg_hi:[0,1]
	v_mov_b32_e32 v10, v21
	v_mov_b32_e32 v11, v8
	v_pk_mul_f32 v[10:11], v[10:11], 0.5 op_sel_hi:[1,0]
	s_waitcnt vmcnt(0)
	v_mov_b32_e32 v16, v7
	v_mov_b32_e32 v8, v11
	;; [unrolled: 1-line block ×4, first 2 shown]
	v_pk_mul_f32 v[8:9], v[16:17], v[8:9]
	v_pk_mul_f32 v[22:23], v[6:7], v[10:11] op_sel_hi:[0,1]
	v_pk_fma_f32 v[16:17], v[20:21], v[18:19], v[8:9]
	v_pk_fma_f32 v[18:19], v[20:21], v[18:19], v[8:9] neg_lo:[0,0,1] neg_hi:[0,0,1]
	v_pk_fma_f32 v[8:9], v[6:7], v[10:11], v[16:17] op_sel_hi:[0,1,1] neg_lo:[1,0,0] neg_hi:[1,0,0]
	v_pk_fma_f32 v[6:7], v[6:7], v[10:11], v[18:19] op_sel_hi:[0,1,1] neg_lo:[1,0,0] neg_hi:[1,0,0]
	v_add_f32_e32 v8, v16, v22
                                        ; implicit-def: $vgpr10_vgpr11
.LBB0_17:
	s_andn2_saveexec_b64 s[8:9], s[8:9]
	s_cbranch_execz .LBB0_19
; %bb.18:
	s_waitcnt lgkmcnt(0)
	v_mov_b32_e32 v6, v11
	v_pk_add_f32 v[6:7], v[10:11], v[6:7] neg_lo:[0,1] neg_hi:[0,1]
	v_add_f32_e32 v8, v11, v10
	v_mov_b32_e32 v7, 0
	ds_read_b32 v1, v7 offset:7348
	v_mov_b32_e32 v9, v7
	s_waitcnt lgkmcnt(0)
	v_xor_b32_e32 v1, 0x80000000, v1
	ds_write_b32 v7, v1 offset:7348
.LBB0_19:
	s_or_b64 exec, exec, s[8:9]
	s_waitcnt lgkmcnt(0)
	global_load_dwordx2 v[10:11], v[4:5], off offset:1224
	v_mov_b32_e32 v1, 0
	v_lshl_add_u64 v[16:17], v[0:1], 3, s[4:5]
	global_load_dwordx2 v[16:17], v[16:17], off
	v_mov_b32_e32 v3, v1
	v_lshl_add_u64 v[2:3], v[2:3], 3, s[4:5]
	global_load_dwordx2 v[2:3], v[2:3], off
	s_movk_i32 s4, 0x1000
	v_add_co_u32_e32 v4, vcc, s4, v4
	v_mov_b32_e32 v21, 0.5
	s_nop 0
	v_addc_co_u32_e32 v5, vcc, 0, v5, vcc
	global_load_dwordx2 v[18:19], v[4:5], off offset:800
	ds_write_b64 v69, v[8:9]
	ds_write_b64 v14, v[6:7] offset:14688
	ds_read_b64 v[6:7], v69 offset:1224
	ds_read_b64 v[8:9], v14 offset:13464
	global_load_dwordx2 v[4:5], v[4:5], off offset:2024
	v_mov_b32_e32 v22, v21
	s_waitcnt lgkmcnt(0)
	v_pk_add_f32 v[24:25], v[6:7], v[8:9]
	v_pk_add_f32 v[6:7], v[6:7], v[8:9] neg_lo:[0,1] neg_hi:[0,1]
	v_mov_b32_e32 v8, v25
	v_mov_b32_e32 v9, v6
	v_pk_mul_f32 v[8:9], v[8:9], 0.5 op_sel_hi:[1,0]
	s_waitcnt vmcnt(4)
	v_mov_b32_e32 v23, v11
	v_mov_b32_e32 v25, v8
	;; [unrolled: 1-line block ×4, first 2 shown]
	v_pk_mul_f32 v[22:23], v[24:25], v[22:23]
	s_nop 0
	v_pk_fma_f32 v[24:25], v[20:21], v[6:7], v[22:23] neg_lo:[1,0,0] neg_hi:[1,0,0]
	v_pk_fma_f32 v[6:7], v[20:21], v[6:7], v[22:23]
	v_pk_fma_f32 v[22:23], v[10:11], v[8:9], v[24:25] op_sel_hi:[0,1,1] neg_lo:[1,0,0] neg_hi:[1,0,0]
	v_pk_fma_f32 v[24:25], v[10:11], v[8:9], v[6:7] op_sel_hi:[0,1,1]
	v_pk_fma_f32 v[6:7], v[10:11], v[8:9], v[6:7] op_sel_hi:[0,1,1] neg_lo:[1,0,0] neg_hi:[1,0,0]
	v_mov_b32_e32 v25, v7
	ds_write_b64 v69, v[24:25] offset:1224
	ds_write_b64 v14, v[22:23] offset:13464
	ds_read_b64 v[6:7], v13
	ds_read_b64 v[8:9], v14 offset:12240
	v_mov_b32_e32 v10, v21
	s_waitcnt vmcnt(3)
	v_mov_b32_e32 v11, v17
	v_mov_b32_e32 v20, v17
	s_waitcnt lgkmcnt(0)
	v_pk_add_f32 v[22:23], v[6:7], v[8:9]
	v_pk_add_f32 v[6:7], v[6:7], v[8:9] neg_lo:[0,1] neg_hi:[0,1]
	v_mov_b32_e32 v8, v23
	v_mov_b32_e32 v9, v6
	v_pk_mul_f32 v[8:9], v[8:9], 0.5 op_sel_hi:[1,0]
	s_nop 0
	v_mov_b32_e32 v23, v8
	v_mov_b32_e32 v6, v9
	v_pk_mul_f32 v[10:11], v[22:23], v[10:11]
	s_nop 0
	v_pk_fma_f32 v[22:23], v[20:21], v[6:7], v[10:11] neg_lo:[1,0,0] neg_hi:[1,0,0]
	v_pk_fma_f32 v[6:7], v[20:21], v[6:7], v[10:11]
	v_pk_fma_f32 v[10:11], v[16:17], v[8:9], v[22:23] op_sel_hi:[0,1,1] neg_lo:[1,0,0] neg_hi:[1,0,0]
	v_pk_fma_f32 v[22:23], v[16:17], v[8:9], v[6:7] op_sel_hi:[0,1,1]
	v_pk_fma_f32 v[6:7], v[16:17], v[8:9], v[6:7] op_sel_hi:[0,1,1] neg_lo:[1,0,0] neg_hi:[1,0,0]
	v_mov_b32_e32 v23, v7
	ds_write_b64 v13, v[22:23]
	ds_write_b64 v14, v[10:11] offset:12240
	ds_read_b64 v[6:7], v12
	ds_read_b64 v[8:9], v14 offset:11016
	v_mov_b32_e32 v10, v21
	s_waitcnt vmcnt(2)
	v_mov_b32_e32 v11, v3
	v_mov_b32_e32 v20, v3
	s_waitcnt lgkmcnt(0)
	v_pk_add_f32 v[16:17], v[6:7], v[8:9]
	v_pk_add_f32 v[6:7], v[6:7], v[8:9] neg_lo:[0,1] neg_hi:[0,1]
	v_mov_b32_e32 v8, v17
	v_mov_b32_e32 v9, v6
	v_pk_mul_f32 v[8:9], v[8:9], 0.5 op_sel_hi:[1,0]
	s_nop 0
	v_mov_b32_e32 v17, v8
	v_mov_b32_e32 v6, v9
	v_pk_mul_f32 v[10:11], v[16:17], v[10:11]
	s_nop 0
	v_pk_fma_f32 v[16:17], v[20:21], v[6:7], v[10:11] neg_lo:[1,0,0] neg_hi:[1,0,0]
	v_pk_fma_f32 v[6:7], v[20:21], v[6:7], v[10:11]
	v_pk_fma_f32 v[10:11], v[2:3], v[8:9], v[16:17] op_sel_hi:[0,1,1] neg_lo:[1,0,0] neg_hi:[1,0,0]
	v_pk_fma_f32 v[16:17], v[2:3], v[8:9], v[6:7] op_sel_hi:[0,1,1]
	v_pk_fma_f32 v[2:3], v[2:3], v[8:9], v[6:7] op_sel_hi:[0,1,1] neg_lo:[1,0,0] neg_hi:[1,0,0]
	v_mov_b32_e32 v17, v3
	ds_write_b64 v12, v[16:17]
	ds_write_b64 v14, v[10:11] offset:11016
	ds_read_b64 v[2:3], v69 offset:4896
	ds_read_b64 v[6:7], v14 offset:9792
	v_mov_b32_e32 v8, v21
	s_waitcnt vmcnt(1)
	v_mov_b32_e32 v9, v19
	v_mov_b32_e32 v20, v19
	s_waitcnt lgkmcnt(0)
	v_pk_add_f32 v[10:11], v[2:3], v[6:7]
	v_pk_add_f32 v[2:3], v[2:3], v[6:7] neg_lo:[0,1] neg_hi:[0,1]
	v_mov_b32_e32 v6, v11
	v_mov_b32_e32 v7, v2
	v_pk_mul_f32 v[6:7], v[6:7], 0.5 op_sel_hi:[1,0]
	s_nop 0
	v_mov_b32_e32 v11, v6
	v_mov_b32_e32 v2, v7
	v_pk_mul_f32 v[8:9], v[10:11], v[8:9]
	s_nop 0
	v_pk_fma_f32 v[10:11], v[20:21], v[2:3], v[8:9] neg_lo:[1,0,0] neg_hi:[1,0,0]
	v_pk_fma_f32 v[2:3], v[20:21], v[2:3], v[8:9]
	v_pk_fma_f32 v[8:9], v[18:19], v[6:7], v[10:11] op_sel_hi:[0,1,1] neg_lo:[1,0,0] neg_hi:[1,0,0]
	v_pk_fma_f32 v[10:11], v[18:19], v[6:7], v[2:3] op_sel_hi:[0,1,1]
	v_pk_fma_f32 v[2:3], v[18:19], v[6:7], v[2:3] op_sel_hi:[0,1,1] neg_lo:[1,0,0] neg_hi:[1,0,0]
	v_mov_b32_e32 v11, v3
	ds_write_b64 v69, v[10:11] offset:4896
	ds_write_b64 v14, v[8:9] offset:9792
	ds_read_b64 v[2:3], v69 offset:6120
	ds_read_b64 v[6:7], v14 offset:8568
	v_mov_b32_e32 v8, v21
	s_waitcnt vmcnt(0)
	v_mov_b32_e32 v9, v5
	v_mov_b32_e32 v20, v5
	s_waitcnt lgkmcnt(0)
	v_pk_add_f32 v[10:11], v[2:3], v[6:7]
	v_pk_add_f32 v[2:3], v[2:3], v[6:7] neg_lo:[0,1] neg_hi:[0,1]
	v_mov_b32_e32 v6, v11
	v_mov_b32_e32 v7, v2
	v_pk_mul_f32 v[6:7], v[6:7], 0.5 op_sel_hi:[1,0]
	s_nop 0
	v_mov_b32_e32 v11, v6
	v_mov_b32_e32 v2, v7
	v_pk_mul_f32 v[8:9], v[10:11], v[8:9]
	s_nop 0
	v_pk_fma_f32 v[10:11], v[20:21], v[2:3], v[8:9] neg_lo:[1,0,0] neg_hi:[1,0,0]
	v_pk_fma_f32 v[2:3], v[20:21], v[2:3], v[8:9]
	v_pk_fma_f32 v[8:9], v[4:5], v[6:7], v[10:11] op_sel_hi:[0,1,1] neg_lo:[1,0,0] neg_hi:[1,0,0]
	v_pk_fma_f32 v[10:11], v[4:5], v[6:7], v[2:3] op_sel_hi:[0,1,1]
	v_pk_fma_f32 v[2:3], v[4:5], v[6:7], v[2:3] op_sel_hi:[0,1,1] neg_lo:[1,0,0] neg_hi:[1,0,0]
	v_mov_b32_e32 v11, v3
	ds_write_b64 v69, v[10:11] offset:6120
	ds_write_b64 v14, v[8:9] offset:8568
	s_waitcnt lgkmcnt(0)
	s_barrier
	s_and_saveexec_b64 s[4:5], s[0:1]
	s_cbranch_execz .LBB0_22
; %bb.20:
	v_mul_lo_u32 v0, s3, v34
	v_mul_lo_u32 v4, s2, v35
	v_mad_u64_u32 v[2:3], s[0:1], s2, v34, 0
	v_lshl_add_u32 v12, v36, 3, 0
	v_add3_u32 v3, v3, v4, v0
	ds_read2_b64 v[4:7], v12 offset1:153
	v_lshl_add_u64 v[2:3], v[2:3], 3, s[6:7]
	v_mov_b32_e32 v37, v1
	v_lshl_add_u64 v[2:3], v[32:33], 3, v[2:3]
	v_lshl_add_u64 v[8:9], v[36:37], 3, v[2:3]
	s_waitcnt lgkmcnt(0)
	global_store_dwordx2 v[8:9], v[4:5], off
	v_add_u32_e32 v4, 0x800, v12
	ds_read2_b64 v[8:11], v4 offset0:50 offset1:203
	v_add_u32_e32 v0, 0x99, v36
	v_lshl_add_u64 v[4:5], v[0:1], 3, v[2:3]
	v_add_u32_e32 v0, 0x132, v36
	global_store_dwordx2 v[4:5], v[6:7], off
	v_lshl_add_u64 v[4:5], v[0:1], 3, v[2:3]
	s_waitcnt lgkmcnt(0)
	global_store_dwordx2 v[4:5], v[8:9], off
	v_add_u32_e32 v4, 0x1000, v12
	ds_read2_b64 v[4:7], v4 offset0:100 offset1:253
	v_add_u32_e32 v0, 0x1cb, v36
	v_lshl_add_u64 v[8:9], v[0:1], 3, v[2:3]
	v_add_u32_e32 v0, 0x264, v36
	global_store_dwordx2 v[8:9], v[10:11], off
	;; [unrolled: 9-line block ×5, first 2 shown]
	v_lshl_add_u64 v[4:5], v[0:1], 3, v[2:3]
	v_add_u32_e32 v0, 0x693, v36
	s_movk_i32 s0, 0x98
	v_lshl_add_u64 v[0:1], v[0:1], 3, v[2:3]
	v_cmp_eq_u32_e32 vcc, s0, v36
	s_waitcnt lgkmcnt(0)
	global_store_dwordx2 v[4:5], v[8:9], off
	global_store_dwordx2 v[0:1], v[10:11], off
	s_and_b64 exec, exec, vcc
	s_cbranch_execz .LBB0_22
; %bb.21:
	v_mov_b32_e32 v0, 0
	ds_read_b64 v[0:1], v0 offset:14688
	v_add_co_u32_e32 v2, vcc, 0x3000, v2
	s_nop 1
	v_addc_co_u32_e32 v3, vcc, 0, v3, vcc
	s_waitcnt lgkmcnt(0)
	global_store_dwordx2 v[2:3], v[0:1], off offset:2400
.LBB0_22:
	s_endpgm
	.section	.rodata,"a",@progbits
	.p2align	6, 0x0
	.amdhsa_kernel fft_rtc_fwd_len1836_factors_17_3_3_2_6_wgs_153_tpt_153_halfLds_sp_op_CI_CI_unitstride_sbrr_R2C_dirReg
		.amdhsa_group_segment_fixed_size 0
		.amdhsa_private_segment_fixed_size 0
		.amdhsa_kernarg_size 104
		.amdhsa_user_sgpr_count 2
		.amdhsa_user_sgpr_dispatch_ptr 0
		.amdhsa_user_sgpr_queue_ptr 0
		.amdhsa_user_sgpr_kernarg_segment_ptr 1
		.amdhsa_user_sgpr_dispatch_id 0
		.amdhsa_user_sgpr_kernarg_preload_length 0
		.amdhsa_user_sgpr_kernarg_preload_offset 0
		.amdhsa_user_sgpr_private_segment_size 0
		.amdhsa_uses_dynamic_stack 0
		.amdhsa_enable_private_segment 0
		.amdhsa_system_sgpr_workgroup_id_x 1
		.amdhsa_system_sgpr_workgroup_id_y 0
		.amdhsa_system_sgpr_workgroup_id_z 0
		.amdhsa_system_sgpr_workgroup_info 0
		.amdhsa_system_vgpr_workitem_id 0
		.amdhsa_next_free_vgpr 285
		.amdhsa_next_free_sgpr 70
		.amdhsa_accum_offset 256
		.amdhsa_reserve_vcc 1
		.amdhsa_float_round_mode_32 0
		.amdhsa_float_round_mode_16_64 0
		.amdhsa_float_denorm_mode_32 3
		.amdhsa_float_denorm_mode_16_64 3
		.amdhsa_dx10_clamp 1
		.amdhsa_ieee_mode 1
		.amdhsa_fp16_overflow 0
		.amdhsa_tg_split 0
		.amdhsa_exception_fp_ieee_invalid_op 0
		.amdhsa_exception_fp_denorm_src 0
		.amdhsa_exception_fp_ieee_div_zero 0
		.amdhsa_exception_fp_ieee_overflow 0
		.amdhsa_exception_fp_ieee_underflow 0
		.amdhsa_exception_fp_ieee_inexact 0
		.amdhsa_exception_int_div_zero 0
	.end_amdhsa_kernel
	.text
.Lfunc_end0:
	.size	fft_rtc_fwd_len1836_factors_17_3_3_2_6_wgs_153_tpt_153_halfLds_sp_op_CI_CI_unitstride_sbrr_R2C_dirReg, .Lfunc_end0-fft_rtc_fwd_len1836_factors_17_3_3_2_6_wgs_153_tpt_153_halfLds_sp_op_CI_CI_unitstride_sbrr_R2C_dirReg
                                        ; -- End function
	.section	.AMDGPU.csdata,"",@progbits
; Kernel info:
; codeLenInByte = 12060
; NumSgprs: 76
; NumVgprs: 256
; NumAgprs: 29
; TotalNumVgprs: 285
; ScratchSize: 0
; MemoryBound: 0
; FloatMode: 240
; IeeeMode: 1
; LDSByteSize: 0 bytes/workgroup (compile time only)
; SGPRBlocks: 9
; VGPRBlocks: 35
; NumSGPRsForWavesPerEU: 76
; NumVGPRsForWavesPerEU: 285
; AccumOffset: 256
; Occupancy: 1
; WaveLimiterHint : 1
; COMPUTE_PGM_RSRC2:SCRATCH_EN: 0
; COMPUTE_PGM_RSRC2:USER_SGPR: 2
; COMPUTE_PGM_RSRC2:TRAP_HANDLER: 0
; COMPUTE_PGM_RSRC2:TGID_X_EN: 1
; COMPUTE_PGM_RSRC2:TGID_Y_EN: 0
; COMPUTE_PGM_RSRC2:TGID_Z_EN: 0
; COMPUTE_PGM_RSRC2:TIDIG_COMP_CNT: 0
; COMPUTE_PGM_RSRC3_GFX90A:ACCUM_OFFSET: 63
; COMPUTE_PGM_RSRC3_GFX90A:TG_SPLIT: 0
	.text
	.p2alignl 6, 3212836864
	.fill 256, 4, 3212836864
	.type	__hip_cuid_428fa95a32892f52,@object ; @__hip_cuid_428fa95a32892f52
	.section	.bss,"aw",@nobits
	.globl	__hip_cuid_428fa95a32892f52
__hip_cuid_428fa95a32892f52:
	.byte	0                               ; 0x0
	.size	__hip_cuid_428fa95a32892f52, 1

	.ident	"AMD clang version 19.0.0git (https://github.com/RadeonOpenCompute/llvm-project roc-6.4.0 25133 c7fe45cf4b819c5991fe208aaa96edf142730f1d)"
	.section	".note.GNU-stack","",@progbits
	.addrsig
	.addrsig_sym __hip_cuid_428fa95a32892f52
	.amdgpu_metadata
---
amdhsa.kernels:
  - .agpr_count:     29
    .args:
      - .actual_access:  read_only
        .address_space:  global
        .offset:         0
        .size:           8
        .value_kind:     global_buffer
      - .offset:         8
        .size:           8
        .value_kind:     by_value
      - .actual_access:  read_only
        .address_space:  global
        .offset:         16
        .size:           8
        .value_kind:     global_buffer
      - .actual_access:  read_only
        .address_space:  global
        .offset:         24
        .size:           8
        .value_kind:     global_buffer
      - .actual_access:  read_only
        .address_space:  global
        .offset:         32
        .size:           8
        .value_kind:     global_buffer
      - .offset:         40
        .size:           8
        .value_kind:     by_value
      - .actual_access:  read_only
        .address_space:  global
        .offset:         48
        .size:           8
        .value_kind:     global_buffer
      - .actual_access:  read_only
        .address_space:  global
        .offset:         56
        .size:           8
        .value_kind:     global_buffer
      - .offset:         64
        .size:           4
        .value_kind:     by_value
      - .actual_access:  read_only
        .address_space:  global
        .offset:         72
        .size:           8
        .value_kind:     global_buffer
      - .actual_access:  read_only
        .address_space:  global
        .offset:         80
        .size:           8
        .value_kind:     global_buffer
      - .actual_access:  read_only
        .address_space:  global
        .offset:         88
        .size:           8
        .value_kind:     global_buffer
      - .actual_access:  write_only
        .address_space:  global
        .offset:         96
        .size:           8
        .value_kind:     global_buffer
    .group_segment_fixed_size: 0
    .kernarg_segment_align: 8
    .kernarg_segment_size: 104
    .language:       OpenCL C
    .language_version:
      - 2
      - 0
    .max_flat_workgroup_size: 153
    .name:           fft_rtc_fwd_len1836_factors_17_3_3_2_6_wgs_153_tpt_153_halfLds_sp_op_CI_CI_unitstride_sbrr_R2C_dirReg
    .private_segment_fixed_size: 0
    .sgpr_count:     76
    .sgpr_spill_count: 0
    .symbol:         fft_rtc_fwd_len1836_factors_17_3_3_2_6_wgs_153_tpt_153_halfLds_sp_op_CI_CI_unitstride_sbrr_R2C_dirReg.kd
    .uniform_work_group_size: 1
    .uses_dynamic_stack: false
    .vgpr_count:     285
    .vgpr_spill_count: 0
    .wavefront_size: 64
amdhsa.target:   amdgcn-amd-amdhsa--gfx950
amdhsa.version:
  - 1
  - 2
...

	.end_amdgpu_metadata
